;; amdgpu-corpus repo=ROCm/rocFFT kind=compiled arch=gfx950 opt=O3
	.text
	.amdgcn_target "amdgcn-amd-amdhsa--gfx950"
	.amdhsa_code_object_version 6
	.protected	bluestein_single_fwd_len2197_dim1_sp_op_CI_CI ; -- Begin function bluestein_single_fwd_len2197_dim1_sp_op_CI_CI
	.globl	bluestein_single_fwd_len2197_dim1_sp_op_CI_CI
	.p2align	8
	.type	bluestein_single_fwd_len2197_dim1_sp_op_CI_CI,@function
bluestein_single_fwd_len2197_dim1_sp_op_CI_CI: ; @bluestein_single_fwd_len2197_dim1_sp_op_CI_CI
; %bb.0:
	s_load_dwordx4 s[16:19], s[0:1], 0x28
	v_mul_u32_u24_e32 v1, 0x184, v0
	v_add_u32_sdwa v56, s2, v1 dst_sel:DWORD dst_unused:UNUSED_PAD src0_sel:DWORD src1_sel:WORD_1
	v_mov_b32_e32 v57, 0
	s_waitcnt lgkmcnt(0)
	v_cmp_gt_u64_e32 vcc, s[16:17], v[56:57]
	s_and_saveexec_b64 s[2:3], vcc
	s_cbranch_execz .LBB0_2
; %bb.1:
	s_load_dwordx4 s[12:15], s[0:1], 0x18
	s_load_dwordx4 s[8:11], s[0:1], 0x0
	v_mov_b32_e32 v2, s18
	v_mov_b32_e32 v3, s19
	s_mov_b32 s20, 0xbeedf032
	s_waitcnt lgkmcnt(0)
	s_load_dwordx4 s[4:7], s[14:15], 0x0
	s_mov_b32 s21, 0x3f62ad3f
	s_load_dwordx4 s[12:15], s[12:13], 0x0
	s_mov_b32 s48, s21
	s_mov_b32 s49, s20
	s_waitcnt lgkmcnt(0)
	v_mad_u64_u32 v[8:9], s[2:3], s6, v56, 0
	v_mov_b32_e32 v6, v9
	v_mad_u64_u32 v[4:5], s[2:3], s14, v56, 0
	v_mad_u64_u32 v[6:7], s[2:3], s7, v56, v[6:7]
	v_accvgpr_write_b32 a2, v6
	v_mov_b32_e32 v6, v5
	v_mad_u64_u32 v[6:7], s[2:3], s15, v56, v[6:7]
	s_movk_i32 s2, 0xa9
	s_nop 0
	v_mul_lo_u16_sdwa v1, v1, s2 dst_sel:DWORD dst_unused:UNUSED_PAD src0_sel:WORD_1 src1_sel:DWORD
	v_accvgpr_write_b32 a0, v8
	v_sub_u16_e32 v8, v0, v1
	v_mad_u64_u32 v[0:1], s[2:3], s12, v8, 0
	v_mov_b32_e32 v5, v6
	v_mov_b32_e32 v6, v1
	v_mad_u64_u32 v[6:7], s[2:3], s13, v8, v[6:7]
	v_mov_b32_e32 v1, v6
	v_lshl_add_u64 v[2:3], v[4:5], 3, v[2:3]
	v_lshlrev_b32_e32 v56, 3, v8
	v_lshl_add_u64 v[0:1], v[0:1], 3, v[2:3]
	v_lshl_add_u64 v[84:85], s[8:9], 0, v[56:57]
	v_mov_b32_e32 v57, 0x548
	global_load_dwordx2 v[2:3], v[0:1], off
	v_mad_u64_u32 v[0:1], s[2:3], s12, v57, v[0:1]
	s_mul_i32 s6, s13, 0x548
	v_add_u32_e32 v1, s6, v1
	v_mad_u64_u32 v[4:5], s[2:3], s12, v57, v[0:1]
	v_add_u32_e32 v5, s6, v5
	v_mad_u64_u32 v[6:7], s[2:3], s12, v57, v[4:5]
	v_add_u32_e32 v7, s6, v7
	v_mov_b32_e32 v52, v8
	v_mad_u64_u32 v[8:9], s[2:3], s12, v57, v[6:7]
	v_add_u32_e32 v9, s6, v9
	s_movk_i32 s2, 0x1000
	global_load_dwordx2 v[82:83], v56, s[8:9]
	global_load_dwordx2 v[80:81], v56, s[8:9] offset:1352
	global_load_dwordx2 v[74:75], v56, s[8:9] offset:2704
	;; [unrolled: 1-line block ×3, first 2 shown]
	global_load_dwordx2 v[10:11], v[0:1], off
	global_load_dwordx2 v[12:13], v[4:5], off
	;; [unrolled: 1-line block ×4, first 2 shown]
	v_add_co_u32_e32 v0, vcc, s2, v84
	v_mad_u64_u32 v[4:5], s[2:3], s12, v57, v[8:9]
	v_add_u32_e32 v5, s6, v5
	v_addc_co_u32_e32 v1, vcc, 0, v85, vcc
	global_load_dwordx2 v[6:7], v[4:5], off
	global_load_dwordx2 v[78:79], v[0:1], off offset:1312
	global_load_dwordx2 v[68:69], v[0:1], off offset:2664
	v_mad_u64_u32 v[4:5], s[2:3], s12, v57, v[4:5]
	v_add_u32_e32 v5, s6, v5
	global_load_dwordx2 v[8:9], v[4:5], off
	v_mad_u64_u32 v[4:5], s[2:3], s12, v57, v[4:5]
	s_movk_i32 s2, 0x2000
	v_add_u32_e32 v5, s6, v5
	v_add_co_u32_e32 v20, vcc, s2, v84
	global_load_dwordx2 v[18:19], v[4:5], off
	s_nop 0
	v_addc_co_u32_e32 v21, vcc, 0, v85, vcc
	global_load_dwordx2 v[72:73], v[0:1], off offset:4016
	global_load_dwordx2 v[64:65], v[20:21], off offset:1272
	v_mad_u64_u32 v[0:1], s[2:3], s12, v57, v[4:5]
	v_add_u32_e32 v1, s6, v1
	global_load_dwordx2 v[4:5], v[0:1], off
	v_mad_u64_u32 v[0:1], s[2:3], s12, v57, v[0:1]
	v_add_u32_e32 v1, s6, v1
	global_load_dwordx2 v[22:23], v[0:1], off
	global_load_dwordx2 v[66:67], v[20:21], off offset:2624
	global_load_dwordx2 v[60:61], v[20:21], off offset:3976
	v_mad_u64_u32 v[0:1], s[2:3], s12, v57, v[0:1]
	v_add_u32_e32 v1, s6, v1
	s_movk_i32 s2, 0x3000
	global_load_dwordx2 v[20:21], v[0:1], off
	v_add_co_u32_e32 v24, vcc, s2, v84
	v_mad_u64_u32 v[0:1], s[2:3], s12, v57, v[0:1]
	s_nop 0
	v_addc_co_u32_e32 v25, vcc, 0, v85, vcc
	v_add_u32_e32 v1, s6, v1
	global_load_dwordx2 v[58:59], v[24:25], off offset:1232
	global_load_dwordx2 v[26:27], v[0:1], off
	global_load_dwordx2 v[76:77], v[24:25], off offset:2584
	v_mad_u64_u32 v[0:1], s[2:3], s12, v57, v[0:1]
	v_add_u32_e32 v1, s6, v1
	global_load_dwordx2 v[28:29], v[0:1], off
	global_load_dwordx2 v[30:31], v[24:25], off offset:3936
	v_add_u32_e32 v62, 0x800, v56
	s_mov_b32 s6, 0xbf52af12
	s_mov_b32 s7, 0x3f116cb1
	;; [unrolled: 1-line block ×26, first 2 shown]
	s_waitcnt vmcnt(24)
	v_mul_f32_e32 v0, v3, v83
	v_mul_f32_e32 v1, v2, v83
	v_fmac_f32_e32 v0, v2, v82
	v_fma_f32 v1, v3, v82, -v1
	s_waitcnt vmcnt(20)
	v_mul_f32_e32 v2, v11, v81
	v_mul_f32_e32 v3, v10, v81
	v_fmac_f32_e32 v2, v10, v80
	v_fma_f32 v3, v11, v80, -v3
	ds_write2_b64 v56, v[0:1], v[2:3] offset1:169
	s_waitcnt vmcnt(19)
	v_mul_f32_e32 v0, v13, v75
	v_mul_f32_e32 v1, v12, v75
	s_waitcnt vmcnt(18)
	v_mul_f32_e32 v2, v15, v71
	v_mul_f32_e32 v3, v14, v71
	v_fmac_f32_e32 v0, v12, v74
	v_fma_f32 v1, v13, v74, -v1
	v_fmac_f32_e32 v2, v14, v70
	v_fma_f32 v3, v15, v70, -v3
	ds_write2_b64 v62, v[0:1], v[2:3] offset0:82 offset1:251
	s_waitcnt vmcnt(15)
	v_mul_f32_e32 v0, v17, v79
	v_mul_f32_e32 v1, v16, v79
	s_waitcnt vmcnt(14)
	v_mul_f32_e32 v2, v7, v69
	v_mul_f32_e32 v3, v6, v69
	v_fmac_f32_e32 v0, v16, v78
	v_fma_f32 v1, v17, v78, -v1
	v_fmac_f32_e32 v2, v6, v68
	v_fma_f32 v3, v7, v68, -v3
	v_add_u32_e32 v6, 0x1400, v56
	ds_write2_b64 v6, v[0:1], v[2:3] offset0:36 offset1:205
	s_waitcnt vmcnt(11)
	v_mul_f32_e32 v0, v9, v73
	v_mul_f32_e32 v1, v8, v73
	s_waitcnt vmcnt(10)
	v_mul_f32_e32 v2, v19, v65
	v_mul_f32_e32 v3, v18, v65
	v_mov_b32_e32 v10, v6
	v_fmac_f32_e32 v0, v8, v72
	v_fma_f32 v1, v9, v72, -v1
	v_fmac_f32_e32 v2, v18, v64
	v_fma_f32 v3, v19, v64, -v3
	v_add_u32_e32 v6, 0x1e00, v56
	ds_write2_b64 v6, v[0:1], v[2:3] offset0:54 offset1:223
	s_waitcnt vmcnt(7)
	v_mul_f32_e32 v0, v5, v67
	v_mul_f32_e32 v1, v4, v67
	s_waitcnt vmcnt(6)
	v_mul_f32_e32 v2, v23, v61
	v_mul_f32_e32 v3, v22, v61
	v_fmac_f32_e32 v0, v4, v66
	v_fma_f32 v1, v5, v66, -v1
	v_fmac_f32_e32 v2, v22, v60
	v_fma_f32 v3, v23, v60, -v3
	v_add_u32_e32 v4, 0x2800, v56
	ds_write2_b64 v4, v[0:1], v[2:3] offset0:72 offset1:241
	s_waitcnt vmcnt(4)
	v_mul_f32_e32 v0, v21, v59
	v_mul_f32_e32 v1, v20, v59
	s_waitcnt vmcnt(2)
	v_mul_f32_e32 v2, v27, v77
	v_mul_f32_e32 v3, v26, v77
	v_mov_b32_e32 v12, v4
	v_fmac_f32_e32 v0, v20, v58
	v_fma_f32 v1, v21, v58, -v1
	v_fmac_f32_e32 v2, v26, v76
	v_fma_f32 v3, v27, v76, -v3
	v_add_u32_e32 v4, 0x3400, v56
	ds_write2_b64 v4, v[0:1], v[2:3] offset0:26 offset1:195
	s_waitcnt vmcnt(0)
	v_mul_f32_e32 v0, v29, v31
	v_mul_f32_e32 v1, v28, v31
	v_fmac_f32_e32 v0, v28, v30
	v_fma_f32 v1, v29, v30, -v1
	v_mov_b32_e32 v24, v6
	v_mov_b32_e32 v25, v4
	ds_write_b64 v56, v[0:1] offset:16224
	s_waitcnt lgkmcnt(0)
	s_barrier
	ds_read2_b64 v[4:7], v10 offset0:36 offset1:205
	v_mov_b32_e32 v200, v10
	ds_read2_b64 v[8:11], v12 offset0:72 offset1:241
	v_mov_b32_e32 v201, v12
	ds_read2_b64 v[12:15], v62 offset0:82 offset1:251
	ds_read2_b64 v[0:3], v56 offset1:169
	v_mov_b32_e32 v236, v24
	v_mov_b32_e32 v196, v25
	s_waitcnt lgkmcnt(2)
	v_pk_add_f32 v[40:41], v[10:11], v[4:5]
	v_pk_add_f32 v[22:23], v[4:5], v[10:11] neg_lo:[0,1] neg_hi:[0,1]
	s_waitcnt lgkmcnt(0)
	v_pk_add_f32 v[16:17], v[0:1], v[2:3]
	v_pk_add_f32 v[38:39], v[8:9], v[6:7]
	;; [unrolled: 1-line block ×3, first 2 shown]
	ds_read2_b64 v[16:19], v24 offset0:54 offset1:223
	v_pk_add_f32 v[20:21], v[20:21], v[14:15]
	v_pk_add_f32 v[28:29], v[6:7], v[8:9] neg_lo:[0,1] neg_hi:[0,1]
	v_pk_add_f32 v[4:5], v[20:21], v[4:5]
	v_accvgpr_write_b32 a4, v30
	v_pk_add_f32 v[20:21], v[4:5], v[6:7]
	ds_read2_b64 v[4:7], v25 offset0:26 offset1:195
	s_waitcnt lgkmcnt(1)
	v_pk_add_f32 v[20:21], v[20:21], v[16:17]
	v_pk_add_f32 v[44:45], v[18:19], v[16:17]
	;; [unrolled: 1-line block ×3, first 2 shown]
	v_pk_add_f32 v[34:35], v[16:17], v[18:19] neg_lo:[0,1] neg_hi:[0,1]
	v_pk_add_f32 v[8:9], v[20:21], v[8:9]
	s_waitcnt lgkmcnt(0)
	v_pk_add_f32 v[88:89], v[6:7], v[12:13]
	v_pk_add_f32 v[8:9], v[8:9], v[10:11]
	v_pk_add_f32 v[10:11], v[12:13], v[6:7] neg_lo:[0,1] neg_hi:[0,1]
	ds_read_b64 v[12:13], v56 offset:16224
	v_pk_add_f32 v[48:49], v[4:5], v[14:15]
	v_pk_add_f32 v[20:21], v[14:15], v[4:5] neg_lo:[0,1] neg_hi:[0,1]
	v_pk_add_f32 v[4:5], v[8:9], v[4:5]
	v_accvgpr_write_b32 a5, v31
	v_pk_add_f32 v[4:5], v[4:5], v[6:7]
	s_waitcnt lgkmcnt(0)
	v_pk_add_f32 v[94:95], v[12:13], v[2:3]
	v_pk_add_f32 v[42:43], v[4:5], v[12:13]
	v_pk_add_f32 v[4:5], v[2:3], v[12:13] neg_lo:[0,1] neg_hi:[0,1]
	v_mov_b32_e32 v3, v95
	v_mov_b32_e32 v95, v4
	;; [unrolled: 1-line block ×3, first 2 shown]
	v_pk_mul_f32 v[8:9], v[94:95], s[48:49]
	v_mov_b32_e32 v4, v11
	v_mov_b32_e32 v5, v89
	;; [unrolled: 1-line block ×3, first 2 shown]
	v_pk_fma_f32 v[10:11], v[2:3], s[20:21], v[8:9] neg_lo:[1,0,0] neg_hi:[1,0,0]
	v_pk_fma_f32 v[6:7], v[2:3], s[20:21], v[8:9]
	v_pk_mul_f32 v[12:13], v[88:89], s[34:35]
	v_mov_b32_e32 v11, v7
	v_pk_add_f32 v[14:15], v[0:1], v[10:11]
	v_pk_fma_f32 v[16:17], v[4:5], s[6:7], v[12:13] neg_lo:[1,0,0] neg_hi:[1,0,0]
	v_pk_fma_f32 v[10:11], v[4:5], s[6:7], v[12:13]
	v_mul_lo_u16_e32 v7, 13, v52
	v_mov_b32_e32 v17, v11
	v_pk_add_f32 v[24:25], v[16:17], v[14:15]
	v_mov_b32_e32 v15, v49
	v_mov_b32_e32 v49, v20
	;; [unrolled: 1-line block ×3, first 2 shown]
	v_pk_mul_f32 v[18:19], v[48:49], s[40:41]
	v_lshlrev_b32_e32 v63, 3, v7
	v_pk_fma_f32 v[20:21], v[14:15], s[14:15], v[18:19] neg_lo:[1,0,0] neg_hi:[1,0,0]
	v_pk_fma_f32 v[16:17], v[14:15], s[14:15], v[18:19]
	s_nop 0
	v_mov_b32_e32 v21, v17
	v_pk_add_f32 v[26:27], v[20:21], v[24:25]
	v_mov_b32_e32 v21, v41
	v_mov_b32_e32 v41, v22
	;; [unrolled: 1-line block ×3, first 2 shown]
	v_pk_mul_f32 v[24:25], v[40:41], s[30:31]
	s_barrier
	v_pk_fma_f32 v[30:31], v[20:21], s[2:3], v[24:25] neg_lo:[1,0,0] neg_hi:[1,0,0]
	v_pk_fma_f32 v[22:23], v[20:21], s[2:3], v[24:25]
	s_nop 0
	v_mov_b32_e32 v31, v23
	v_pk_add_f32 v[32:33], v[30:31], v[26:27]
	v_mov_b32_e32 v27, v39
	v_mov_b32_e32 v39, v28
	;; [unrolled: 1-line block ×3, first 2 shown]
	v_pk_mul_f32 v[30:31], v[38:39], s[36:37]
	v_pk_mul_f32 v[86:87], v[88:89], s[30:31]
	v_pk_fma_f32 v[36:37], v[26:27], s[8:9], v[30:31] neg_lo:[1,0,0] neg_hi:[1,0,0]
	v_pk_fma_f32 v[28:29], v[26:27], s[8:9], v[30:31]
	v_pk_fma_f32 v[92:93], v[4:5], s[2:3], v[86:87] neg_lo:[1,0,0] neg_hi:[1,0,0]
	v_mov_b32_e32 v37, v29
	v_pk_add_f32 v[46:47], v[36:37], v[32:33]
	v_mov_b32_e32 v33, v45
	v_mov_b32_e32 v45, v34
	;; [unrolled: 1-line block ×3, first 2 shown]
	v_pk_mul_f32 v[36:37], v[44:45], s[38:39]
	v_pk_mul_f32 v[96:97], v[48:49], s[38:39]
	v_pk_fma_f32 v[50:51], v[32:33], s[12:13], v[36:37] neg_lo:[1,0,0] neg_hi:[1,0,0]
	v_pk_fma_f32 v[34:35], v[32:33], s[12:13], v[36:37]
	v_pk_fma_f32 v[98:99], v[14:15], s[12:13], v[96:97] neg_lo:[1,0,0] neg_hi:[1,0,0]
	v_mov_b32_e32 v51, v35
	v_pk_add_f32 v[46:47], v[50:51], v[46:47]
	v_pk_mul_f32 v[50:51], v[94:95], s[34:35]
	ds_write2_b64 v63, v[42:43], v[46:47] offset1:1
	v_pk_fma_f32 v[90:91], v[2:3], s[6:7], v[50:51] neg_lo:[1,0,0] neg_hi:[1,0,0]
	v_pk_fma_f32 v[42:43], v[2:3], s[6:7], v[50:51]
	v_pk_fma_f32 v[46:47], v[4:5], s[2:3], v[86:87]
	v_mov_b32_e32 v91, v43
	v_mov_b32_e32 v93, v47
	v_pk_add_f32 v[90:91], v[0:1], v[90:91]
	v_pk_mul_f32 v[100:101], v[40:41], s[46:47]
	v_pk_add_f32 v[92:93], v[92:93], v[90:91]
	v_pk_fma_f32 v[90:91], v[14:15], s[12:13], v[96:97]
	v_pk_fma_f32 v[102:103], v[20:21], s[22:23], v[100:101] neg_lo:[1,0,0] neg_hi:[1,0,0]
	v_mov_b32_e32 v99, v91
	v_pk_add_f32 v[98:99], v[98:99], v[92:93]
	v_pk_fma_f32 v[92:93], v[20:21], s[22:23], v[100:101]
	s_mov_b32 s43, s16
	v_mov_b32_e32 v103, v93
	v_pk_add_f32 v[104:105], v[102:103], v[98:99]
	s_mov_b32 s17, s15
	v_pk_mul_f32 v[102:103], v[38:39], s[42:43]
	s_mov_b32 s18, 0x3eedf032
	v_pk_fma_f32 v[106:107], v[26:27], s[16:17], v[102:103] neg_lo:[1,0,0] neg_hi:[1,0,0]
	v_pk_fma_f32 v[98:99], v[26:27], s[16:17], v[102:103]
	s_mov_b32 s44, s21
	v_mov_b32_e32 v107, v99
	s_mov_b32 s45, s18
	v_pk_add_f32 v[108:109], v[106:107], v[104:105]
	s_mov_b32 s19, s21
	v_pk_mul_f32 v[106:107], v[44:45], s[44:45]
	v_pk_mul_f32 v[112:113], v[94:95], s[40:41]
	v_pk_fma_f32 v[110:111], v[32:33], s[18:19], v[106:107] neg_lo:[1,0,0] neg_hi:[1,0,0]
	v_pk_fma_f32 v[104:105], v[32:33], s[18:19], v[106:107]
	v_pk_fma_f32 v[116:117], v[2:3], s[14:15], v[112:113] neg_lo:[1,0,0] neg_hi:[1,0,0]
	v_mov_b32_e32 v111, v105
	v_pk_add_f32 v[132:133], v[110:111], v[108:109]
	v_pk_fma_f32 v[108:109], v[2:3], s[14:15], v[112:113]
	v_pk_mul_f32 v[114:115], v[88:89], s[38:39]
	s_mov_b32 s26, 0x3f6f5d39
	v_mov_b32_e32 v117, v109
	v_pk_fma_f32 v[118:119], v[4:5], s[12:13], v[114:115] neg_lo:[1,0,0] neg_hi:[1,0,0]
	v_pk_fma_f32 v[110:111], v[4:5], s[12:13], v[114:115]
	s_mov_b32 s54, s3
	s_mov_b32 s55, s26
	v_mov_b32_e32 v119, v111
	v_pk_add_f32 v[116:117], v[0:1], v[116:117]
	s_mov_b32 s27, s3
	v_pk_mul_f32 v[122:123], v[48:49], s[54:55]
	v_pk_add_f32 v[118:119], v[118:119], v[116:117]
	v_pk_fma_f32 v[120:121], v[14:15], s[26:27], v[122:123] neg_lo:[1,0,0] neg_hi:[1,0,0]
	v_pk_fma_f32 v[116:117], v[14:15], s[26:27], v[122:123]
	v_pk_mul_f32 v[126:127], v[40:41], s[44:45]
	v_mov_b32_e32 v121, v117
	v_pk_add_f32 v[120:121], v[120:121], v[118:119]
	v_pk_fma_f32 v[124:125], v[20:21], s[18:19], v[126:127] neg_lo:[1,0,0] neg_hi:[1,0,0]
	v_pk_fma_f32 v[118:119], v[20:21], s[18:19], v[126:127]
	v_pk_mul_f32 v[128:129], v[38:39], s[34:35]
	v_mov_b32_e32 v125, v119
	;; [unrolled: 5-line block ×3, first 2 shown]
	v_pk_add_f32 v[134:135], v[130:131], v[124:125]
	v_pk_mul_f32 v[130:131], v[44:45], s[36:37]
	v_pk_fma_f32 v[140:141], v[4:5], s[22:23], v[138:139] neg_lo:[1,0,0] neg_hi:[1,0,0]
	v_pk_fma_f32 v[136:137], v[32:33], s[8:9], v[130:131] neg_lo:[1,0,0] neg_hi:[1,0,0]
	v_pk_fma_f32 v[124:125], v[32:33], s[8:9], v[130:131]
	v_pk_fma_f32 v[142:143], v[4:5], s[22:23], v[138:139]
	v_mov_b32_e32 v137, v125
	v_pk_add_f32 v[134:135], v[136:137], v[134:135]
	ds_write2_b64 v63, v[132:133], v[134:135] offset0:2 offset1:3
	v_pk_mul_f32 v[134:135], v[94:95], s[30:31]
	v_mov_b32_e32 v141, v143
	v_pk_fma_f32 v[136:137], v[2:3], s[2:3], v[134:135] neg_lo:[1,0,0] neg_hi:[1,0,0]
	v_pk_fma_f32 v[132:133], v[2:3], s[2:3], v[134:135]
	s_mov_b32 s28, 0x3e750f2a
	v_mov_b32_e32 v137, v133
	v_pk_add_f32 v[136:137], v[0:1], v[136:137]
	s_mov_b32 s52, s13
	v_pk_add_f32 v[136:137], v[140:141], v[136:137]
	v_pk_mul_f32 v[140:141], v[48:49], s[44:45]
	s_mov_b32 s53, s28
	v_pk_fma_f32 v[144:145], v[14:15], s[18:19], v[140:141] neg_lo:[1,0,0] neg_hi:[1,0,0]
	v_pk_fma_f32 v[146:147], v[14:15], s[18:19], v[140:141]
	s_mov_b32 s29, s13
	v_mov_b32_e32 v145, v147
	v_pk_add_f32 v[136:137], v[144:145], v[136:137]
	v_pk_mul_f32 v[144:145], v[40:41], s[40:41]
	s_mov_b32 s24, 0x3f52af12
	v_pk_fma_f32 v[148:149], v[20:21], s[14:15], v[144:145] neg_lo:[1,0,0] neg_hi:[1,0,0]
	v_pk_fma_f32 v[150:151], v[20:21], s[14:15], v[144:145]
	s_mov_b32 s50, s7
	v_mov_b32_e32 v149, v151
	;; [unrolled: 7-line block ×3, first 2 shown]
	v_pk_add_f32 v[136:137], v[152:153], v[136:137]
	v_pk_mul_f32 v[152:153], v[44:45], s[50:51]
	v_pk_mul_f32 v[164:165], v[88:89], s[42:43]
	v_pk_fma_f32 v[156:157], v[32:33], s[24:25], v[152:153] neg_lo:[1,0,0] neg_hi:[1,0,0]
	v_pk_fma_f32 v[158:159], v[32:33], s[24:25], v[152:153]
	v_pk_fma_f32 v[166:167], v[4:5], s[16:17], v[164:165] neg_lo:[1,0,0] neg_hi:[1,0,0]
	v_mov_b32_e32 v157, v159
	v_pk_add_f32 v[136:137], v[156:157], v[136:137]
	v_pk_mul_f32 v[156:157], v[94:95], s[36:37]
	v_pk_fma_f32 v[168:169], v[4:5], s[16:17], v[164:165]
	v_pk_fma_f32 v[160:161], v[2:3], s[8:9], v[156:157] neg_lo:[1,0,0] neg_hi:[1,0,0]
	v_pk_fma_f32 v[162:163], v[2:3], s[8:9], v[156:157]
	v_mov_b32_e32 v167, v169
	v_mov_b32_e32 v161, v163
	v_pk_add_f32 v[160:161], v[0:1], v[160:161]
	v_pk_mul_f32 v[94:95], v[94:95], s[38:39]
	v_pk_add_f32 v[160:161], v[166:167], v[160:161]
	v_pk_mul_f32 v[166:167], v[48:49], s[34:35]
	v_pk_mul_f32 v[88:89], v[88:89], s[44:45]
	v_pk_fma_f32 v[170:171], v[14:15], s[6:7], v[166:167] neg_lo:[1,0,0] neg_hi:[1,0,0]
	v_pk_fma_f32 v[172:173], v[14:15], s[6:7], v[166:167]
	v_pk_fma_f32 v[186:187], v[4:5], s[18:19], v[88:89]
	v_mov_b32_e32 v171, v173
	v_pk_add_f32 v[160:161], v[170:171], v[160:161]
	v_pk_mul_f32 v[170:171], v[40:41], s[52:53]
	v_pk_mul_f32 v[48:49], v[48:49], s[36:37]
	v_pk_fma_f32 v[174:175], v[20:21], s[28:29], v[170:171] neg_lo:[1,0,0] neg_hi:[1,0,0]
	v_pk_fma_f32 v[176:177], v[20:21], s[28:29], v[170:171]
	v_pk_fma_f32 v[188:189], v[14:15], s[8:9], v[48:49]
	v_mov_b32_e32 v175, v177
	;; [unrolled: 7-line block ×4, first 2 shown]
	v_pk_add_f32 v[160:161], v[182:183], v[160:161]
	ds_write2_b64 v63, v[136:137], v[160:161] offset0:4 offset1:5
	v_pk_fma_f32 v[136:137], v[2:3], s[12:13], v[94:95] neg_lo:[1,0,0] neg_hi:[1,0,0]
	v_pk_fma_f32 v[160:161], v[2:3], s[12:13], v[94:95]
	v_pk_fma_f32 v[182:183], v[4:5], s[18:19], v[88:89] neg_lo:[1,0,0] neg_hi:[1,0,0]
	v_mov_b32_e32 v137, v161
	v_mov_b32_e32 v183, v187
	v_pk_add_f32 v[136:137], v[0:1], v[136:137]
	v_pk_mul_f32 v[44:45], v[44:45], s[42:43]
	v_pk_add_f32 v[136:137], v[182:183], v[136:137]
	v_pk_fma_f32 v[182:183], v[14:15], s[8:9], v[48:49] neg_lo:[1,0,0] neg_hi:[1,0,0]
	v_pk_fma_f32 v[94:95], v[2:3], s[12:13], v[94:95] neg_lo:[0,0,1] neg_hi:[0,0,1]
	v_mov_b32_e32 v183, v189
	v_pk_add_f32 v[136:137], v[182:183], v[136:137]
	v_pk_fma_f32 v[182:183], v[20:21], s[24:25], v[40:41] neg_lo:[1,0,0] neg_hi:[1,0,0]
	v_pk_fma_f32 v[194:195], v[32:33], s[16:17], v[44:45]
	v_mov_b32_e32 v183, v191
	v_pk_add_f32 v[136:137], v[182:183], v[136:137]
	v_pk_fma_f32 v[182:183], v[26:27], s[2:3], v[38:39] neg_lo:[1,0,0] neg_hi:[1,0,0]
	v_pk_fma_f32 v[38:39], v[26:27], s[2:3], v[38:39] neg_lo:[0,0,1] neg_hi:[0,0,1]
	v_mov_b32_e32 v183, v193
	v_pk_add_f32 v[136:137], v[182:183], v[136:137]
	v_pk_fma_f32 v[182:183], v[32:33], s[16:17], v[44:45] neg_lo:[1,0,0] neg_hi:[1,0,0]
	v_mov_b32_e32 v161, v95
	v_pk_fma_f32 v[88:89], v[4:5], s[18:19], v[88:89] neg_lo:[0,0,1] neg_hi:[0,0,1]
	v_mov_b32_e32 v193, v39
	;; [unrolled: 2-line block ×3, first 2 shown]
	v_mov_b32_e32 v187, v89
	v_pk_fma_f32 v[48:49], v[14:15], s[8:9], v[48:49] neg_lo:[0,0,1] neg_hi:[0,0,1]
	v_mov_b32_e32 v195, v39
	v_pk_add_f32 v[38:39], v[0:1], v[160:161]
	v_mov_b32_e32 v189, v49
	v_pk_fma_f32 v[40:41], v[20:21], s[24:25], v[40:41] neg_lo:[0,0,1] neg_hi:[0,0,1]
	v_pk_add_f32 v[38:39], v[186:187], v[38:39]
	v_mov_b32_e32 v191, v41
	v_pk_add_f32 v[38:39], v[188:189], v[38:39]
	v_pk_add_f32 v[136:137], v[182:183], v[136:137]
	;; [unrolled: 1-line block ×3, first 2 shown]
	v_pk_fma_f32 v[40:41], v[2:3], s[2:3], v[134:135] neg_lo:[0,0,1] neg_hi:[0,0,1]
	v_pk_add_f32 v[38:39], v[192:193], v[38:39]
	v_mov_b32_e32 v133, v41
	v_pk_add_f32 v[38:39], v[194:195], v[38:39]
	ds_write2_b64 v63, v[136:137], v[38:39] offset0:6 offset1:7
	v_pk_fma_f32 v[38:39], v[2:3], s[8:9], v[156:157] neg_lo:[0,0,1] neg_hi:[0,0,1]
	v_pk_fma_f32 v[40:41], v[4:5], s[22:23], v[138:139] neg_lo:[0,0,1] neg_hi:[0,0,1]
	v_mov_b32_e32 v163, v39
	v_pk_fma_f32 v[38:39], v[4:5], s[16:17], v[164:165] neg_lo:[0,0,1] neg_hi:[0,0,1]
	v_mov_b32_e32 v143, v41
	v_mov_b32_e32 v169, v39
	v_pk_fma_f32 v[38:39], v[14:15], s[6:7], v[166:167] neg_lo:[0,0,1] neg_hi:[0,0,1]
	v_pk_fma_f32 v[40:41], v[14:15], s[18:19], v[140:141] neg_lo:[0,0,1] neg_hi:[0,0,1]
	v_mov_b32_e32 v173, v39
	v_pk_fma_f32 v[38:39], v[20:21], s[28:29], v[170:171] neg_lo:[0,0,1] neg_hi:[0,0,1]
	v_mov_b32_e32 v147, v41
	;; [unrolled: 2-line block ×7, first 2 shown]
	v_pk_add_f32 v[38:39], v[0:1], v[162:163]
	v_mov_b32_e32 v159, v41
	v_pk_add_f32 v[40:41], v[0:1], v[132:133]
	v_pk_add_f32 v[38:39], v[168:169], v[38:39]
	;; [unrolled: 1-line block ×11, first 2 shown]
	ds_write2_b64 v63, v[38:39], v[40:41] offset0:8 offset1:9
	v_pk_fma_f32 v[38:39], v[2:3], s[14:15], v[112:113] neg_lo:[0,0,1] neg_hi:[0,0,1]
	v_pk_fma_f32 v[40:41], v[2:3], s[6:7], v[50:51] neg_lo:[0,0,1] neg_hi:[0,0,1]
	v_mov_b32_e32 v109, v39
	v_pk_fma_f32 v[38:39], v[4:5], s[12:13], v[114:115] neg_lo:[0,0,1] neg_hi:[0,0,1]
	v_mov_b32_e32 v43, v41
	;; [unrolled: 2-line block ×8, first 2 shown]
	v_pk_fma_f32 v[40:41], v[26:27], s[16:17], v[102:103] neg_lo:[0,0,1] neg_hi:[0,0,1]
	v_pk_fma_f32 v[2:3], v[2:3], s[20:21], v[8:9] neg_lo:[0,0,1] neg_hi:[0,0,1]
	v_mov_b32_e32 v121, v39
	v_pk_fma_f32 v[38:39], v[32:33], s[8:9], v[130:131] neg_lo:[0,0,1] neg_hi:[0,0,1]
	v_mov_b32_e32 v99, v41
	;; [unrolled: 2-line block ×4, first 2 shown]
	v_pk_add_f32 v[38:39], v[0:1], v[108:109]
	v_mov_b32_e32 v105, v41
	v_pk_add_f32 v[40:41], v[0:1], v[42:43]
	v_pk_add_f32 v[0:1], v[0:1], v[6:7]
	v_mov_b32_e32 v11, v3
	v_pk_fma_f32 v[2:3], v[14:15], s[14:15], v[18:19] neg_lo:[0,0,1] neg_hi:[0,0,1]
	v_pk_add_f32 v[0:1], v[10:11], v[0:1]
	v_mov_b32_e32 v17, v3
	v_pk_fma_f32 v[2:3], v[20:21], s[2:3], v[24:25] neg_lo:[0,0,1] neg_hi:[0,0,1]
	;; [unrolled: 3-line block ×4, first 2 shown]
	v_pk_add_f32 v[0:1], v[28:29], v[0:1]
	v_mov_b32_e32 v35, v3
	v_pk_add_f32 v[0:1], v[34:35], v[0:1]
	s_movk_i32 s33, 0x4f
	ds_write_b64 v63, v[0:1] offset:96
	v_mul_lo_u16_sdwa v0, v52, s33 dst_sel:DWORD dst_unused:UNUSED_PAD src0_sel:BYTE_0 src1_sel:DWORD
	v_lshrrev_b16_e32 v0, 10, v0
	v_pk_add_f32 v[38:39], v[110:111], v[38:39]
	v_pk_add_f32 v[40:41], v[46:47], v[40:41]
	v_mul_lo_u16_e32 v1, 13, v0
	v_pk_add_f32 v[38:39], v[116:117], v[38:39]
	v_pk_add_f32 v[40:41], v[90:91], v[40:41]
	v_sub_u16_e32 v1, v52, v1
	v_pk_add_f32 v[38:39], v[118:119], v[38:39]
	v_pk_add_f32 v[40:41], v[92:93], v[40:41]
	v_and_b32_e32 v1, 0xff, v1
	v_pk_add_f32 v[38:39], v[120:121], v[38:39]
	v_pk_add_f32 v[40:41], v[98:99], v[40:41]
	v_mul_u32_u24_e32 v2, 12, v1
	v_pk_add_f32 v[38:39], v[124:125], v[38:39]
	v_pk_add_f32 v[40:41], v[104:105], v[40:41]
	v_lshlrev_b32_e32 v2, 3, v2
	ds_write2_b64 v63, v[38:39], v[40:41] offset0:10 offset1:11
	s_waitcnt lgkmcnt(0)
	s_barrier
	v_mov_b32_e32 v4, v52
	global_load_dwordx4 v[86:89], v2, s[10:11] offset:16
	global_load_dwordx4 v[202:205], v2, s[10:11] offset:32
	;; [unrolled: 1-line block ×5, first 2 shown]
	global_load_dwordx4 v[10:13], v2, s[10:11]
	ds_read2_b64 v[24:27], v200 offset0:36 offset1:205
	v_mul_u32_u24_e32 v0, 0xa9, v0
	s_movk_i32 s33, 0x60
	v_accvgpr_write_b32 a1, v4
	s_load_dwordx2 s[0:1], s[0:1], 0x38
	s_waitcnt vmcnt(5)
	v_mov_b32_e32 v2, v89
	s_waitcnt lgkmcnt(0)
	v_pk_mul_f32 v[28:29], v[24:25], v[2:3] op_sel_hi:[1,0]
	s_waitcnt vmcnt(4)
	v_mov_b32_e32 v2, v205
	v_pk_fma_f32 v[32:33], v[24:25], v[88:89], v[28:29] op_sel:[0,0,1] op_sel_hi:[1,1,0] neg_lo:[0,0,1] neg_hi:[0,0,1]
	v_pk_fma_f32 v[34:35], v[24:25], v[88:89], v[28:29] op_sel:[0,0,1] op_sel_hi:[1,0,0]
	ds_read2_b64 v[28:31], v236 offset0:54 offset1:223
	v_pk_mul_f32 v[24:25], v[26:27], v[202:203] op_sel:[0,1]
	s_waitcnt vmcnt(3)
	v_mov_b32_e32 v90, v55
	v_pk_fma_f32 v[36:37], v[26:27], v[202:203], v[24:25] op_sel:[0,0,1] op_sel_hi:[1,1,0] neg_lo:[0,0,1] neg_hi:[0,0,1]
	v_pk_fma_f32 v[38:39], v[26:27], v[202:203], v[24:25] op_sel:[0,0,1] op_sel_hi:[1,0,0]
	s_waitcnt lgkmcnt(0)
	v_pk_mul_f32 v[24:25], v[28:29], v[2:3] op_sel_hi:[1,0]
	s_waitcnt vmcnt(0)
	v_mov_b32_e32 v34, v11
	v_pk_fma_f32 v[40:41], v[28:29], v[204:205], v[24:25] op_sel:[0,0,1] op_sel_hi:[1,1,0] neg_lo:[0,0,1] neg_hi:[0,0,1]
	v_pk_fma_f32 v[42:43], v[28:29], v[204:205], v[24:25] op_sel:[0,0,1] op_sel_hi:[1,0,0]
	ds_read2_b64 v[24:27], v201 offset0:72 offset1:241
	v_pk_mul_f32 v[28:29], v[30:31], v[52:53] op_sel:[0,1]
	v_mov_b32_e32 v2, v196
	v_pk_fma_f32 v[44:45], v[30:31], v[52:53], v[28:29] op_sel:[0,0,1] op_sel_hi:[1,1,0] neg_lo:[0,0,1] neg_hi:[0,0,1]
	v_pk_fma_f32 v[46:47], v[30:31], v[52:53], v[28:29] op_sel:[0,0,1] op_sel_hi:[1,0,0]
	s_waitcnt lgkmcnt(0)
	v_pk_mul_f32 v[28:29], v[24:25], v[90:91] op_sel_hi:[1,0]
	v_mov_b32_e32 v45, v47
	v_pk_fma_f32 v[48:49], v[24:25], v[54:55], v[28:29] op_sel:[0,0,1] op_sel_hi:[1,1,0] neg_lo:[0,0,1] neg_hi:[0,0,1]
	v_pk_fma_f32 v[50:51], v[24:25], v[54:55], v[28:29] op_sel:[0,0,1] op_sel_hi:[1,0,0]
	ds_read2_b64 v[28:31], v196 offset0:26 offset1:195
	v_pk_mul_f32 v[24:25], v[26:27], v[16:17] op_sel:[0,1]
	v_mov_b32_e32 v33, v35
	v_pk_fma_f32 v[92:93], v[26:27], v[16:17], v[24:25] op_sel:[0,0,1] op_sel_hi:[1,0,0]
	v_pk_fma_f32 v[96:97], v[26:27], v[16:17], v[24:25] op_sel:[0,0,1] op_sel_hi:[1,1,0] neg_lo:[0,0,1] neg_hi:[0,0,1]
	v_mov_b32_e32 v92, v19
	s_waitcnt lgkmcnt(0)
	v_pk_mul_f32 v[24:25], v[28:29], v[92:93] op_sel_hi:[1,0]
	v_mov_b32_e32 v37, v39
	v_pk_fma_f32 v[98:99], v[28:29], v[18:19], v[24:25] op_sel:[0,0,1] op_sel_hi:[1,0,0] neg_lo:[0,0,1] neg_hi:[0,0,1]
	v_pk_fma_f32 v[100:101], v[28:29], v[18:19], v[24:25] op_sel:[0,0,1] op_sel_hi:[1,0,0]
	ds_read2_b64 v[24:27], v56 offset1:169
	v_pk_mul_f32 v[28:29], v[30:31], v[20:21] op_sel:[0,1]
	v_mov_b32_e32 v41, v43
	v_pk_fma_f32 v[102:103], v[30:31], v[20:21], v[28:29] op_sel:[0,0,1] op_sel_hi:[1,0,0] neg_lo:[0,0,1] neg_hi:[0,0,1]
	v_pk_fma_f32 v[104:105], v[30:31], v[20:21], v[28:29] op_sel:[0,0,1] op_sel_hi:[1,0,0]
	ds_read2_b64 v[28:31], v62 offset0:82 offset1:251
	s_waitcnt lgkmcnt(1)
	v_pk_mul_f32 v[94:95], v[26:27], v[34:35]
	v_mov_b32_e32 v34, v27
	v_pk_fma_f32 v[106:107], v[34:35], v[10:11], v[94:95]
	v_mov_b32_e32 v34, v13
	s_waitcnt lgkmcnt(0)
	v_pk_mul_f32 v[94:95], v[28:29], v[34:35]
	v_mov_b32_e32 v34, v29
	v_pk_fma_f32 v[108:109], v[34:35], v[12:13], v[94:95]
	v_pk_mul_f32 v[94:95], v[28:29], v[12:13]
	v_mov_b32_e32 v3, v108
	v_mov_b32_e32 v34, v95
	v_pk_mul_f32 v[94:95], v[30:31], v[86:87]
	v_pk_fma_f32 v[28:29], v[28:29], v[12:13], v[34:35] neg_lo:[0,0,1] neg_hi:[0,0,1]
	v_mov_b32_e32 v34, v95
	v_pk_fma_f32 v[112:113], v[30:31], v[86:87], v[34:35] neg_lo:[0,0,1] neg_hi:[0,0,1]
	v_mov_b32_e32 v34, v87
	v_pk_mul_f32 v[94:95], v[30:31], v[34:35]
	v_mov_b32_e32 v30, v31
	v_pk_fma_f32 v[114:115], v[30:31], v[86:87], v[94:95]
	ds_read_b64 v[30:31], v56 offset:16224
	v_mov_b32_e32 v94, v23
	v_pk_add_f32 v[118:119], v[28:29], v[102:103]
	v_pk_add_f32 v[46:47], v[28:29], v[102:103] neg_lo:[0,1] neg_hi:[0,1]
	v_mov_b32_e32 v50, v28
	v_pk_add_f32 v[28:29], v[2:3], v[104:105]
	s_waitcnt lgkmcnt(0)
	v_pk_mul_f32 v[34:35], v[30:31], v[94:95] op_sel_hi:[1,0]
	v_mov_b32_e32 v28, v105
	v_mov_b32_e32 v3, v114
	v_pk_fma_f32 v[38:39], v[30:31], v[22:23], v[34:35] op_sel:[0,0,1] op_sel_hi:[1,0,0] neg_lo:[0,0,1] neg_hi:[0,0,1]
	v_pk_fma_f32 v[34:35], v[30:31], v[22:23], v[34:35] op_sel:[0,0,1] op_sel_hi:[1,0,0]
	v_pk_add_f32 v[126:127], v[108:109], v[28:29] neg_lo:[0,1] neg_hi:[0,1]
	v_mov_b32_e32 v103, v101
	v_pk_add_f32 v[30:31], v[2:3], v[100:101]
	v_mov_b32_e32 v28, v101
	v_pk_mul_f32 v[100:101], v[26:27], v[10:11]
	v_pk_add_f32 v[116:117], v[114:115], v[28:29] neg_lo:[0,1] neg_hi:[0,1]
	v_mov_b32_e32 v28, v101
	v_pk_fma_f32 v[100:101], v[26:27], v[10:11], v[28:29] neg_lo:[0,0,1] neg_hi:[0,0,1]
	v_mov_b32_e32 v26, v35
	v_mov_b32_e32 v3, v106
	;; [unrolled: 1-line block ×5, first 2 shown]
	v_pk_add_f32 v[144:145], v[106:107], v[26:27] neg_lo:[0,1] neg_hi:[0,1]
	v_pk_add_f32 v[26:27], v[2:3], v[34:35]
	v_pk_add_f32 v[146:147], v[100:101], v[38:39]
	v_pk_add_f32 v[34:35], v[100:101], v[38:39] neg_lo:[0,1] neg_hi:[0,1]
	v_pk_add_f32 v[38:39], v[24:25], v[100:101]
	v_pk_add_f32 v[100:101], v[24:25], v[2:3]
	v_mov_b32_e32 v49, v51
	v_mov_b32_e32 v51, v108
	;; [unrolled: 1-line block ×5, first 2 shown]
	v_pk_add_f32 v[110:111], v[112:113], v[98:99]
	v_pk_add_f32 v[98:99], v[112:113], v[98:99] neg_lo:[0,1] neg_hi:[0,1]
	v_mov_b32_e32 v113, v114
	v_pk_add_f32 v[38:39], v[38:39], v[50:51]
	v_mov_b32_e32 v97, v93
	v_pk_add_f32 v[38:39], v[38:39], v[112:113]
	v_pk_add_f32 v[130:131], v[36:37], v[48:49]
	;; [unrolled: 1-line block ×3, first 2 shown]
	v_pk_add_f32 v[100:101], v[36:37], v[48:49] neg_lo:[0,1] neg_hi:[0,1]
	v_pk_add_f32 v[38:39], v[38:39], v[36:37]
	v_pk_add_f32 v[142:143], v[32:33], v[96:97]
	v_pk_add_f32 v[38:39], v[38:39], v[40:41]
	v_mov_b32_e32 v147, v34
	v_pk_add_f32 v[38:39], v[38:39], v[44:45]
	v_mov_b32_e32 v26, v144
	v_pk_add_f32 v[36:37], v[38:39], v[48:49]
	v_pk_add_f32 v[48:49], v[32:33], v[96:97] neg_lo:[0,1] neg_hi:[0,1]
	v_pk_add_f32 v[32:33], v[36:37], v[96:97]
	v_pk_mul_f32 v[34:35], v[146:147], s[48:49]
	v_pk_add_f32 v[32:33], v[32:33], v[102:103]
	v_mov_b32_e32 v119, v46
	v_pk_add_f32 v[32:33], v[32:33], v[42:43]
	v_pk_fma_f32 v[36:37], v[144:145], s[20:21], v[34:35] neg_lo:[1,0,0] neg_hi:[1,0,0]
	v_pk_add_f32 v[108:109], v[32:33], v[104:105]
	v_pk_fma_f32 v[32:33], v[26:27], s[20:21], v[34:35]
	v_mov_b32_e32 v28, v126
	v_mov_b32_e32 v37, v33
	v_pk_mul_f32 v[38:39], v[118:119], s[34:35]
	v_pk_add_f32 v[122:123], v[40:41], v[44:45]
	v_pk_add_f32 v[106:107], v[40:41], v[44:45] neg_lo:[0,1] neg_hi:[0,1]
	v_pk_add_f32 v[40:41], v[24:25], v[36:37]
	v_pk_fma_f32 v[42:43], v[126:127], s[6:7], v[38:39] neg_lo:[1,0,0] neg_hi:[1,0,0]
	v_pk_fma_f32 v[36:37], v[28:29], s[6:7], v[38:39]
	v_mov_b32_e32 v111, v98
	v_mov_b32_e32 v43, v37
	v_pk_add_f32 v[44:45], v[42:43], v[40:41]
	v_mov_b32_e32 v30, v116
	v_pk_mul_f32 v[42:43], v[110:111], s[40:41]
	v_add_lshl_u32 v95, v0, v1, 3
	v_pk_fma_f32 v[46:47], v[116:117], s[14:15], v[42:43] neg_lo:[1,0,0] neg_hi:[1,0,0]
	v_pk_fma_f32 v[40:41], v[30:31], s[14:15], v[42:43]
	s_nop 0
	v_mov_b32_e32 v47, v41
	v_pk_add_f32 v[50:51], v[46:47], v[44:45]
	v_mov_b32_e32 v45, v143
	v_mov_b32_e32 v143, v48
	;; [unrolled: 1-line block ×3, first 2 shown]
	v_pk_mul_f32 v[48:49], v[142:143], s[30:31]
	s_barrier
	v_pk_fma_f32 v[96:97], v[44:45], s[2:3], v[48:49] neg_lo:[1,0,0] neg_hi:[1,0,0]
	v_pk_fma_f32 v[46:47], v[44:45], s[2:3], v[48:49]
	s_nop 0
	v_mov_b32_e32 v97, v47
	v_pk_add_f32 v[102:103], v[96:97], v[50:51]
	v_mov_b32_e32 v51, v131
	v_mov_b32_e32 v131, v100
	;; [unrolled: 1-line block ×3, first 2 shown]
	v_pk_mul_f32 v[98:99], v[130:131], s[36:37]
	v_pk_mul_f32 v[114:115], v[118:119], s[30:31]
	v_pk_fma_f32 v[100:101], v[50:51], s[8:9], v[98:99] neg_lo:[1,0,0] neg_hi:[1,0,0]
	v_pk_fma_f32 v[96:97], v[50:51], s[8:9], v[98:99]
	v_pk_fma_f32 v[124:125], v[126:127], s[2:3], v[114:115] neg_lo:[1,0,0] neg_hi:[1,0,0]
	v_mov_b32_e32 v101, v97
	v_pk_add_f32 v[112:113], v[100:101], v[102:103]
	v_mov_b32_e32 v101, v123
	v_mov_b32_e32 v123, v106
	;; [unrolled: 1-line block ×3, first 2 shown]
	v_pk_mul_f32 v[104:105], v[122:123], s[38:39]
	v_pk_mul_f32 v[132:133], v[110:111], s[38:39]
	v_pk_fma_f32 v[106:107], v[100:101], s[12:13], v[104:105] neg_lo:[1,0,0] neg_hi:[1,0,0]
	v_pk_fma_f32 v[102:103], v[100:101], s[12:13], v[104:105]
	v_pk_fma_f32 v[128:129], v[116:117], s[12:13], v[132:133] neg_lo:[1,0,0] neg_hi:[1,0,0]
	v_mov_b32_e32 v107, v103
	v_pk_add_f32 v[106:107], v[106:107], v[112:113]
	v_pk_mul_f32 v[112:113], v[146:147], s[34:35]
	ds_write2_b64 v95, v[108:109], v[106:107] offset1:13
	v_pk_fma_f32 v[120:121], v[144:145], s[6:7], v[112:113] neg_lo:[1,0,0] neg_hi:[1,0,0]
	v_pk_fma_f32 v[106:107], v[26:27], s[6:7], v[112:113]
	v_pk_fma_f32 v[108:109], v[28:29], s[2:3], v[114:115]
	v_mov_b32_e32 v121, v107
	v_mov_b32_e32 v125, v109
	v_pk_add_f32 v[120:121], v[24:25], v[120:121]
	v_pk_mul_f32 v[136:137], v[142:143], s[46:47]
	v_pk_add_f32 v[124:125], v[124:125], v[120:121]
	v_pk_fma_f32 v[120:121], v[30:31], s[12:13], v[132:133]
	v_pk_fma_f32 v[134:135], v[44:45], s[22:23], v[136:137] neg_lo:[1,0,0] neg_hi:[1,0,0]
	v_mov_b32_e32 v129, v121
	v_pk_add_f32 v[128:129], v[128:129], v[124:125]
	v_pk_fma_f32 v[124:125], v[44:45], s[22:23], v[136:137]
	v_pk_mul_f32 v[138:139], v[130:131], s[42:43]
	v_mov_b32_e32 v135, v125
	v_pk_add_f32 v[134:135], v[134:135], v[128:129]
	v_pk_fma_f32 v[140:141], v[50:51], s[16:17], v[138:139] neg_lo:[1,0,0] neg_hi:[1,0,0]
	v_pk_fma_f32 v[128:129], v[50:51], s[16:17], v[138:139]
	v_pk_mul_f32 v[152:153], v[146:147], s[40:41]
	v_mov_b32_e32 v141, v129
	v_pk_add_f32 v[148:149], v[140:141], v[134:135]
	v_pk_mul_f32 v[140:141], v[122:123], s[44:45]
	v_pk_fma_f32 v[156:157], v[144:145], s[14:15], v[152:153] neg_lo:[1,0,0] neg_hi:[1,0,0]
	v_pk_fma_f32 v[150:151], v[100:101], s[18:19], v[140:141] neg_lo:[1,0,0] neg_hi:[1,0,0]
	v_pk_fma_f32 v[134:135], v[100:101], s[18:19], v[140:141]
	v_pk_mul_f32 v[154:155], v[118:119], s[38:39]
	v_mov_b32_e32 v151, v135
	v_pk_add_f32 v[166:167], v[150:151], v[148:149]
	v_pk_fma_f32 v[148:149], v[26:27], s[14:15], v[152:153]
	v_pk_fma_f32 v[158:159], v[126:127], s[12:13], v[154:155] neg_lo:[1,0,0] neg_hi:[1,0,0]
	v_mov_b32_e32 v157, v149
	v_pk_fma_f32 v[150:151], v[28:29], s[12:13], v[154:155]
	v_pk_add_f32 v[156:157], v[24:25], v[156:157]
	v_mov_b32_e32 v159, v151
	v_pk_mul_f32 v[162:163], v[110:111], s[54:55]
	v_pk_add_f32 v[158:159], v[158:159], v[156:157]
	v_pk_fma_f32 v[160:161], v[116:117], s[26:27], v[162:163] neg_lo:[1,0,0] neg_hi:[1,0,0]
	v_pk_fma_f32 v[156:157], v[30:31], s[26:27], v[162:163]
	v_pk_mul_f32 v[168:169], v[142:143], s[44:45]
	v_mov_b32_e32 v161, v157
	v_pk_add_f32 v[160:161], v[160:161], v[158:159]
	v_pk_fma_f32 v[164:165], v[44:45], s[18:19], v[168:169] neg_lo:[1,0,0] neg_hi:[1,0,0]
	v_pk_fma_f32 v[158:159], v[44:45], s[18:19], v[168:169]
	v_pk_mul_f32 v[170:171], v[130:131], s[34:35]
	v_mov_b32_e32 v165, v159
	;; [unrolled: 5-line block ×4, first 2 shown]
	v_pk_add_f32 v[172:173], v[176:177], v[172:173]
	ds_write2_b64 v95, v[166:167], v[172:173] offset0:26 offset1:39
	v_pk_mul_f32 v[166:167], v[146:147], s[30:31]
	v_pk_fma_f32 v[180:181], v[126:127], s[22:23], v[178:179] neg_lo:[1,0,0] neg_hi:[1,0,0]
	v_pk_fma_f32 v[172:173], v[144:145], s[2:3], v[166:167] neg_lo:[1,0,0] neg_hi:[1,0,0]
	v_pk_fma_f32 v[176:177], v[26:27], s[2:3], v[166:167]
	v_pk_fma_f32 v[182:183], v[28:29], s[22:23], v[178:179]
	v_mov_b32_e32 v173, v177
	v_mov_b32_e32 v181, v183
	v_pk_add_f32 v[172:173], v[24:25], v[172:173]
	v_pk_mul_f32 v[210:211], v[118:119], s[42:43]
	v_pk_add_f32 v[172:173], v[180:181], v[172:173]
	v_pk_mul_f32 v[180:181], v[110:111], s[44:45]
	v_pk_fma_f32 v[212:213], v[126:127], s[16:17], v[210:211] neg_lo:[1,0,0] neg_hi:[1,0,0]
	v_pk_fma_f32 v[184:185], v[116:117], s[18:19], v[180:181] neg_lo:[1,0,0] neg_hi:[1,0,0]
	v_pk_fma_f32 v[186:187], v[30:31], s[18:19], v[180:181]
	v_pk_fma_f32 v[214:215], v[28:29], s[16:17], v[210:211]
	v_mov_b32_e32 v185, v187
	v_pk_add_f32 v[172:173], v[184:185], v[172:173]
	v_pk_mul_f32 v[184:185], v[142:143], s[40:41]
	v_mov_b32_e32 v213, v215
	v_pk_fma_f32 v[188:189], v[44:45], s[14:15], v[184:185] neg_lo:[1,0,0] neg_hi:[1,0,0]
	v_pk_fma_f32 v[190:191], v[44:45], s[14:15], v[184:185]
	v_pk_mul_f32 v[118:119], v[118:119], s[44:45]
	v_mov_b32_e32 v189, v191
	v_pk_add_f32 v[172:173], v[188:189], v[172:173]
	v_pk_mul_f32 v[188:189], v[130:131], s[52:53]
	v_pk_fma_f32 v[126:127], v[126:127], s[18:19], v[118:119] neg_lo:[1,0,0] neg_hi:[1,0,0]
	v_pk_fma_f32 v[192:193], v[50:51], s[28:29], v[188:189] neg_lo:[1,0,0] neg_hi:[1,0,0]
	v_pk_fma_f32 v[194:195], v[50:51], s[28:29], v[188:189]
	v_pk_fma_f32 v[112:113], v[26:27], s[6:7], v[112:113] neg_lo:[0,0,1] neg_hi:[0,0,1]
	v_mov_b32_e32 v193, v195
	v_pk_add_f32 v[172:173], v[192:193], v[172:173]
	v_pk_mul_f32 v[192:193], v[122:123], s[50:51]
	v_mov_b32_e32 v107, v113
	v_pk_fma_f32 v[196:197], v[100:101], s[24:25], v[192:193] neg_lo:[1,0,0] neg_hi:[1,0,0]
	v_pk_fma_f32 v[198:199], v[100:101], s[24:25], v[192:193]
	v_pk_add_f32 v[106:107], v[24:25], v[106:107]
	v_mov_b32_e32 v197, v199
	v_pk_add_f32 v[172:173], v[196:197], v[172:173]
	v_pk_mul_f32 v[196:197], v[146:147], s[36:37]
	v_pk_mul_f32 v[146:147], v[146:147], s[38:39]
	v_pk_fma_f32 v[206:207], v[144:145], s[8:9], v[196:197] neg_lo:[1,0,0] neg_hi:[1,0,0]
	v_pk_fma_f32 v[208:209], v[26:27], s[8:9], v[196:197]
	v_pk_fma_f32 v[144:145], v[144:145], s[12:13], v[146:147] neg_lo:[1,0,0] neg_hi:[1,0,0]
	v_mov_b32_e32 v207, v209
	v_pk_add_f32 v[206:207], v[24:25], v[206:207]
	v_pk_fma_f32 v[112:113], v[28:29], s[2:3], v[114:115] neg_lo:[0,0,1] neg_hi:[0,0,1]
	v_pk_add_f32 v[206:207], v[212:213], v[206:207]
	v_pk_mul_f32 v[212:213], v[110:111], s[34:35]
	v_pk_mul_f32 v[110:111], v[110:111], s[36:37]
	v_pk_fma_f32 v[216:217], v[116:117], s[6:7], v[212:213] neg_lo:[1,0,0] neg_hi:[1,0,0]
	v_pk_fma_f32 v[218:219], v[30:31], s[6:7], v[212:213]
	v_pk_fma_f32 v[116:117], v[116:117], s[8:9], v[110:111] neg_lo:[1,0,0] neg_hi:[1,0,0]
	v_mov_b32_e32 v217, v219
	v_pk_add_f32 v[206:207], v[216:217], v[206:207]
	v_pk_mul_f32 v[216:217], v[142:143], s[52:53]
	v_mov_b32_e32 v109, v113
	v_pk_fma_f32 v[220:221], v[44:45], s[28:29], v[216:217] neg_lo:[1,0,0] neg_hi:[1,0,0]
	v_pk_fma_f32 v[222:223], v[44:45], s[28:29], v[216:217]
	v_pk_fma_f32 v[112:113], v[30:31], s[12:13], v[132:133] neg_lo:[0,0,1] neg_hi:[0,0,1]
	v_mov_b32_e32 v221, v223
	v_pk_add_f32 v[206:207], v[220:221], v[206:207]
	v_pk_mul_f32 v[220:221], v[130:131], s[44:45]
	v_pk_mul_f32 v[130:131], v[130:131], s[30:31]
	v_pk_fma_f32 v[224:225], v[50:51], s[18:19], v[220:221] neg_lo:[1,0,0] neg_hi:[1,0,0]
	v_pk_fma_f32 v[226:227], v[50:51], s[18:19], v[220:221]
	v_pk_fma_f32 v[232:233], v[50:51], s[2:3], v[130:131]
	v_mov_b32_e32 v225, v227
	v_pk_add_f32 v[206:207], v[224:225], v[206:207]
	v_pk_mul_f32 v[224:225], v[122:123], s[30:31]
	v_pk_mul_f32 v[122:123], v[122:123], s[42:43]
	v_pk_fma_f32 v[228:229], v[100:101], s[2:3], v[224:225] neg_lo:[1,0,0] neg_hi:[1,0,0]
	v_pk_fma_f32 v[230:231], v[100:101], s[2:3], v[224:225]
	v_pk_fma_f32 v[234:235], v[100:101], s[16:17], v[122:123]
	v_mov_b32_e32 v229, v231
	v_pk_add_f32 v[206:207], v[228:229], v[206:207]
	ds_write2_b64 v95, v[172:173], v[206:207] offset0:52 offset1:65
	v_pk_fma_f32 v[172:173], v[26:27], s[12:13], v[146:147]
	v_pk_fma_f32 v[206:207], v[28:29], s[18:19], v[118:119]
	v_mov_b32_e32 v145, v173
	v_mov_b32_e32 v127, v207
	v_pk_add_f32 v[144:145], v[24:25], v[144:145]
	v_pk_fma_f32 v[118:119], v[28:29], s[18:19], v[118:119] neg_lo:[0,0,1] neg_hi:[0,0,1]
	v_pk_add_f32 v[126:127], v[126:127], v[144:145]
	v_pk_fma_f32 v[144:145], v[30:31], s[8:9], v[110:111]
	v_pk_fma_f32 v[110:111], v[30:31], s[8:9], v[110:111] neg_lo:[0,0,1] neg_hi:[0,0,1]
	v_mov_b32_e32 v117, v145
	v_pk_add_f32 v[116:117], v[116:117], v[126:127]
	v_pk_mul_f32 v[126:127], v[142:143], s[50:51]
	v_mov_b32_e32 v145, v111
	v_pk_fma_f32 v[142:143], v[44:45], s[24:25], v[126:127] neg_lo:[1,0,0] neg_hi:[1,0,0]
	v_pk_fma_f32 v[228:229], v[44:45], s[24:25], v[126:127]
	v_pk_fma_f32 v[110:111], v[44:45], s[24:25], v[126:127] neg_lo:[0,0,1] neg_hi:[0,0,1]
	v_mov_b32_e32 v143, v229
	v_pk_add_f32 v[116:117], v[142:143], v[116:117]
	v_pk_fma_f32 v[142:143], v[50:51], s[2:3], v[130:131] neg_lo:[1,0,0] neg_hi:[1,0,0]
	v_mov_b32_e32 v229, v111
	v_mov_b32_e32 v143, v233
	v_pk_add_f32 v[116:117], v[142:143], v[116:117]
	v_pk_fma_f32 v[142:143], v[100:101], s[16:17], v[122:123] neg_lo:[1,0,0] neg_hi:[1,0,0]
	v_pk_fma_f32 v[110:111], v[50:51], s[2:3], v[130:131] neg_lo:[0,0,1] neg_hi:[0,0,1]
	v_mov_b32_e32 v143, v235
	v_pk_add_f32 v[116:117], v[142:143], v[116:117]
	v_pk_fma_f32 v[142:143], v[26:27], s[12:13], v[146:147] neg_lo:[0,0,1] neg_hi:[0,0,1]
	v_mov_b32_e32 v233, v111
	v_mov_b32_e32 v173, v143
	v_pk_fma_f32 v[110:111], v[100:101], s[16:17], v[122:123] neg_lo:[0,0,1] neg_hi:[0,0,1]
	v_mov_b32_e32 v207, v119
	v_mov_b32_e32 v235, v111
	v_pk_add_f32 v[110:111], v[24:25], v[172:173]
	v_mov_b32_e32 v121, v113
	v_pk_add_f32 v[110:111], v[206:207], v[110:111]
	v_pk_fma_f32 v[112:113], v[44:45], s[22:23], v[136:137] neg_lo:[0,0,1] neg_hi:[0,0,1]
	v_pk_add_f32 v[110:111], v[144:145], v[110:111]
	v_pk_add_f32 v[106:107], v[108:109], v[106:107]
	;; [unrolled: 1-line block ×3, first 2 shown]
	v_mov_b32_e32 v125, v113
	v_pk_add_f32 v[110:111], v[232:233], v[110:111]
	v_pk_fma_f32 v[112:113], v[50:51], s[16:17], v[138:139] neg_lo:[0,0,1] neg_hi:[0,0,1]
	v_pk_add_f32 v[110:111], v[234:235], v[110:111]
	ds_write2_b64 v95, v[116:117], v[110:111] offset0:78 offset1:91
	v_pk_fma_f32 v[110:111], v[26:27], s[8:9], v[196:197] neg_lo:[0,0,1] neg_hi:[0,0,1]
	v_pk_fma_f32 v[116:117], v[26:27], s[2:3], v[166:167] neg_lo:[0,0,1] neg_hi:[0,0,1]
	v_mov_b32_e32 v209, v111
	v_pk_fma_f32 v[110:111], v[28:29], s[16:17], v[210:211] neg_lo:[0,0,1] neg_hi:[0,0,1]
	v_mov_b32_e32 v177, v117
	;; [unrolled: 2-line block ×11, first 2 shown]
	v_pk_add_f32 v[110:111], v[24:25], v[208:209]
	v_mov_b32_e32 v199, v117
	v_pk_add_f32 v[116:117], v[24:25], v[176:177]
	v_pk_add_f32 v[110:111], v[214:215], v[110:111]
	;; [unrolled: 1-line block ×11, first 2 shown]
	ds_write2_b64 v95, v[110:111], v[116:117] offset0:104 offset1:117
	v_pk_fma_f32 v[110:111], v[26:27], s[14:15], v[152:153] neg_lo:[0,0,1] neg_hi:[0,0,1]
	v_pk_fma_f32 v[26:27], v[26:27], s[20:21], v[34:35] neg_lo:[0,0,1] neg_hi:[0,0,1]
	v_mov_b32_e32 v149, v111
	v_pk_fma_f32 v[110:111], v[28:29], s[12:13], v[154:155] neg_lo:[0,0,1] neg_hi:[0,0,1]
	v_mov_b32_e32 v33, v27
	v_mov_b32_e32 v151, v111
	v_pk_fma_f32 v[110:111], v[30:31], s[26:27], v[162:163] neg_lo:[0,0,1] neg_hi:[0,0,1]
	v_pk_fma_f32 v[26:27], v[28:29], s[6:7], v[38:39] neg_lo:[0,0,1] neg_hi:[0,0,1]
	v_mov_b32_e32 v157, v111
	v_pk_fma_f32 v[110:111], v[44:45], s[18:19], v[168:169] neg_lo:[0,0,1] neg_hi:[0,0,1]
	v_mov_b32_e32 v37, v27
	v_mov_b32_e32 v159, v111
	;; [unrolled: 6-line block ×3, first 2 shown]
	v_pk_add_f32 v[110:111], v[24:25], v[148:149]
	v_pk_add_f32 v[24:25], v[24:25], v[32:33]
	v_pk_fma_f32 v[26:27], v[44:45], s[2:3], v[48:49] neg_lo:[0,0,1] neg_hi:[0,0,1]
	v_pk_add_f32 v[24:25], v[36:37], v[24:25]
	v_mov_b32_e32 v47, v27
	v_pk_add_f32 v[24:25], v[40:41], v[24:25]
	v_pk_fma_f32 v[26:27], v[50:51], s[8:9], v[98:99] neg_lo:[0,0,1] neg_hi:[0,0,1]
	v_pk_add_f32 v[110:111], v[150:151], v[110:111]
	v_pk_add_f32 v[24:25], v[46:47], v[24:25]
	v_mov_b32_e32 v97, v27
	v_pk_fma_f32 v[26:27], v[100:101], s[12:13], v[104:105] neg_lo:[0,0,1] neg_hi:[0,0,1]
	v_pk_add_f32 v[110:111], v[156:157], v[110:111]
	v_pk_add_f32 v[106:107], v[120:121], v[106:107]
	;; [unrolled: 1-line block ×3, first 2 shown]
	v_mov_b32_e32 v103, v27
	v_pk_add_f32 v[110:111], v[158:159], v[110:111]
	v_mov_b32_e32 v129, v113
	v_pk_fma_f32 v[112:113], v[100:101], s[18:19], v[140:141] neg_lo:[0,0,1] neg_hi:[0,0,1]
	v_pk_add_f32 v[106:107], v[124:125], v[106:107]
	v_pk_add_f32 v[24:25], v[102:103], v[24:25]
	;; [unrolled: 1-line block ×3, first 2 shown]
	v_mov_b32_e32 v135, v113
	v_pk_add_f32 v[106:107], v[128:129], v[106:107]
	ds_write_b64 v95, v[24:25] offset:1248
	v_mov_b64_e32 v[24:25], s[10:11]
	v_pk_add_f32 v[110:111], v[164:165], v[110:111]
	v_pk_add_f32 v[106:107], v[134:135], v[106:107]
	v_mad_u64_u32 v[32:33], s[10:11], v4, s33, v[24:25]
	ds_write2_b64 v95, v[110:111], v[106:107] offset0:130 offset1:143
	s_waitcnt lgkmcnt(0)
	s_barrier
	global_load_dwordx4 v[24:27], v[32:33], off offset:1264
	global_load_dwordx4 v[28:31], v[32:33], off offset:1280
	;; [unrolled: 1-line block ×5, first 2 shown]
	s_nop 0
	global_load_dwordx4 v[32:35], v[32:33], off offset:1248
	ds_read2_b64 v[48:51], v200 offset0:36 offset1:205
	ds_read2_b64 v[100:103], v236 offset0:54 offset1:223
	v_mov_b32_e32 v23, v200
	v_mov_b32_e32 v19, v2
	s_movk_i32 s10, 0x4000
	s_waitcnt vmcnt(5)
	v_mov_b32_e32 v96, v27
	s_waitcnt lgkmcnt(1)
	v_pk_mul_f32 v[98:99], v[48:49], v[96:97] op_sel_hi:[1,0]
	s_waitcnt vmcnt(3) lgkmcnt(0)
	v_pk_mul_f32 v[104:105], v[102:103], v[36:37] op_sel:[0,1]
	v_pk_fma_f32 v[110:111], v[48:49], v[26:27], v[98:99] op_sel:[0,0,1] op_sel_hi:[1,1,0] neg_lo:[0,0,1] neg_hi:[0,0,1]
	v_pk_fma_f32 v[98:99], v[48:49], v[26:27], v[98:99] op_sel:[0,0,1] op_sel_hi:[1,0,0]
	v_pk_mul_f32 v[48:49], v[50:51], v[28:29] op_sel:[0,1]
	v_mov_b32_e32 v98, v31
	v_pk_fma_f32 v[112:113], v[50:51], v[28:29], v[48:49] op_sel:[0,0,1] op_sel_hi:[1,1,0] neg_lo:[0,0,1] neg_hi:[0,0,1]
	v_pk_fma_f32 v[108:109], v[50:51], v[28:29], v[48:49] op_sel:[0,0,1] op_sel_hi:[1,0,0]
	v_pk_mul_f32 v[48:49], v[100:101], v[98:99] op_sel_hi:[1,0]
	v_pk_fma_f32 v[116:117], v[102:103], v[36:37], v[104:105] op_sel:[0,0,1] op_sel_hi:[1,1,0] neg_lo:[0,0,1] neg_hi:[0,0,1]
	v_pk_fma_f32 v[114:115], v[100:101], v[30:31], v[48:49] op_sel:[0,0,1] op_sel_hi:[1,1,0] neg_lo:[0,0,1] neg_hi:[0,0,1]
	v_pk_fma_f32 v[100:101], v[100:101], v[30:31], v[48:49] op_sel:[0,0,1] op_sel_hi:[1,0,0]
	ds_read2_b64 v[48:51], v201 offset0:72 offset1:241
	v_mov_b32_e32 v100, v39
	v_pk_fma_f32 v[102:103], v[102:103], v[36:37], v[104:105] op_sel:[0,0,1] op_sel_hi:[1,0,0]
	s_waitcnt vmcnt(0)
	v_mov_b32_e32 v108, v33
	v_mov_b32_e32 v102, v43
	s_waitcnt lgkmcnt(0)
	v_pk_mul_f32 v[104:105], v[48:49], v[100:101] op_sel_hi:[1,0]
	v_mov_b32_e32 v113, v109
	v_pk_fma_f32 v[118:119], v[48:49], v[38:39], v[104:105] op_sel:[0,0,1] op_sel_hi:[1,1,0] neg_lo:[0,0,1] neg_hi:[0,0,1]
	v_pk_fma_f32 v[120:121], v[48:49], v[38:39], v[104:105] op_sel:[0,0,1] op_sel_hi:[1,0,0]
	ds_read2_b64 v[104:107], v2 offset0:26 offset1:195
	v_pk_mul_f32 v[48:49], v[50:51], v[40:41] op_sel:[0,1]
	v_mov_b32_e32 v119, v121
	v_pk_fma_f32 v[122:123], v[50:51], v[40:41], v[48:49] op_sel:[0,0,1] op_sel_hi:[1,1,0] neg_lo:[0,0,1] neg_hi:[0,0,1]
	v_pk_fma_f32 v[124:125], v[50:51], v[40:41], v[48:49] op_sel:[0,0,1] op_sel_hi:[1,0,0]
	s_waitcnt lgkmcnt(0)
	v_pk_mul_f32 v[48:49], v[104:105], v[102:103] op_sel_hi:[1,0]
	v_mov_b32_e32 v123, v125
	v_pk_fma_f32 v[126:127], v[104:105], v[42:43], v[48:49] op_sel:[0,0,1] op_sel_hi:[1,0,0] neg_lo:[0,0,1] neg_hi:[0,0,1]
	v_pk_fma_f32 v[128:129], v[104:105], v[42:43], v[48:49] op_sel:[0,0,1] op_sel_hi:[1,0,0]
	ds_read2_b64 v[48:51], v56 offset1:169
	v_pk_mul_f32 v[104:105], v[106:107], v[44:45] op_sel:[0,1]
	v_mov_b32_e32 v111, v99
	v_pk_fma_f32 v[130:131], v[106:107], v[44:45], v[104:105] op_sel:[0,0,1] op_sel_hi:[1,0,0] neg_lo:[0,0,1] neg_hi:[0,0,1]
	v_pk_fma_f32 v[132:133], v[106:107], v[44:45], v[104:105] op_sel:[0,0,1] op_sel_hi:[1,0,0]
	ds_read2_b64 v[104:107], v62 offset0:82 offset1:251
	s_waitcnt lgkmcnt(1)
	v_pk_mul_f32 v[134:135], v[50:51], v[108:109]
	v_mov_b32_e32 v108, v51
	v_pk_fma_f32 v[134:135], v[108:109], v[32:33], v[134:135]
	v_mov_b32_e32 v108, v35
	s_waitcnt lgkmcnt(0)
	v_pk_mul_f32 v[136:137], v[104:105], v[108:109]
	v_mov_b32_e32 v108, v105
	v_pk_mul_f32 v[138:139], v[104:105], v[34:35]
	v_pk_fma_f32 v[136:137], v[108:109], v[34:35], v[136:137]
	v_mov_b32_e32 v108, v139
	v_pk_fma_f32 v[138:139], v[104:105], v[34:35], v[108:109] neg_lo:[0,0,1] neg_hi:[0,0,1]
	v_pk_mul_f32 v[104:105], v[106:107], v[24:25]
	v_mov_b32_e32 v3, v136
	v_mov_b32_e32 v104, v105
	v_pk_fma_f32 v[140:141], v[106:107], v[24:25], v[104:105] neg_lo:[0,0,1] neg_hi:[0,0,1]
	v_mov_b32_e32 v104, v25
	v_pk_mul_f32 v[104:105], v[106:107], v[104:105]
	v_mov_b32_e32 v106, v107
	v_pk_fma_f32 v[142:143], v[106:107], v[24:25], v[104:105]
	ds_read_b64 v[106:107], v56 offset:16224
	v_mov_b32_e32 v104, v47
	v_mov_b32_e32 v145, v133
	;; [unrolled: 1-line block ×3, first 2 shown]
	v_pk_add_f32 v[154:155], v[138:139], v[130:131]
	s_waitcnt lgkmcnt(0)
	v_pk_mul_f32 v[108:109], v[106:107], v[104:105] op_sel_hi:[1,0]
	v_pk_add_f32 v[130:131], v[138:139], v[130:131] neg_lo:[0,1] neg_hi:[0,1]
	v_pk_fma_f32 v[120:121], v[106:107], v[46:47], v[108:109] op_sel:[0,0,1] op_sel_hi:[1,0,0] neg_lo:[0,0,1] neg_hi:[0,0,1]
	v_pk_fma_f32 v[124:125], v[106:107], v[46:47], v[108:109] op_sel:[0,0,1] op_sel_hi:[1,0,0]
	v_pk_add_f32 v[106:107], v[2:3], v[132:133]
	v_mov_b32_e32 v3, v142
	v_mov_b32_e32 v106, v133
	v_pk_add_f32 v[162:163], v[136:137], v[106:107] neg_lo:[0,1] neg_hi:[0,1]
	v_mov_b32_e32 v133, v129
	v_pk_add_f32 v[108:109], v[2:3], v[128:129]
	v_mov_b32_e32 v106, v129
	v_pk_mul_f32 v[128:129], v[50:51], v[32:33]
	v_pk_add_f32 v[150:151], v[142:143], v[106:107] neg_lo:[0,1] neg_hi:[0,1]
	v_mov_b32_e32 v106, v129
	v_pk_fma_f32 v[128:129], v[50:51], v[32:33], v[106:107] neg_lo:[0,0,1] neg_hi:[0,0,1]
	v_mov_b32_e32 v50, v125
	v_mov_b32_e32 v3, v134
	;; [unrolled: 1-line block ×5, first 2 shown]
	v_pk_add_f32 v[178:179], v[134:135], v[50:51] neg_lo:[0,1] neg_hi:[0,1]
	v_pk_add_f32 v[50:51], v[2:3], v[124:125]
	v_pk_add_f32 v[180:181], v[128:129], v[120:121]
	v_pk_add_f32 v[120:121], v[128:129], v[120:121] neg_lo:[0,1] neg_hi:[0,1]
	v_pk_add_f32 v[124:125], v[48:49], v[128:129]
	v_pk_add_f32 v[128:129], v[48:49], v[2:3]
	v_mov_b32_e32 v132, v126
	v_mov_b32_e32 v125, v129
	v_pk_add_f32 v[146:147], v[140:141], v[126:127]
	v_pk_add_f32 v[126:127], v[140:141], v[126:127] neg_lo:[0,1] neg_hi:[0,1]
	v_mov_b32_e32 v141, v142
	v_pk_add_f32 v[124:125], v[124:125], v[138:139]
	v_mov_b32_e32 v115, v101
	v_pk_add_f32 v[124:125], v[124:125], v[140:141]
	v_mov_b32_e32 v117, v103
	v_pk_add_f32 v[124:125], v[124:125], v[110:111]
	v_pk_add_f32 v[160:161], v[114:115], v[116:117]
	v_pk_add_f32 v[124:125], v[124:125], v[112:113]
	v_pk_add_f32 v[138:139], v[114:115], v[116:117] neg_lo:[0,1] neg_hi:[0,1]
	v_pk_add_f32 v[124:125], v[124:125], v[114:115]
	v_pk_add_f32 v[172:173], v[112:113], v[118:119]
	;; [unrolled: 1-line block ×3, first 2 shown]
	v_pk_add_f32 v[134:135], v[112:113], v[118:119] neg_lo:[0,1] neg_hi:[0,1]
	v_pk_add_f32 v[112:113], v[114:115], v[118:119]
	v_pk_add_f32 v[176:177], v[110:111], v[122:123]
	v_pk_add_f32 v[124:125], v[110:111], v[122:123] neg_lo:[0,1] neg_hi:[0,1]
	v_pk_add_f32 v[110:111], v[112:113], v[122:123]
	v_mov_b32_e32 v181, v120
	v_pk_add_f32 v[110:111], v[110:111], v[132:133]
	v_mov_b32_e32 v50, v178
	v_pk_add_f32 v[110:111], v[110:111], v[144:145]
	v_pk_mul_f32 v[112:113], v[180:181], s[48:49]
	v_pk_add_f32 v[140:141], v[110:111], v[136:137]
	v_mov_b32_e32 v155, v130
	v_pk_fma_f32 v[114:115], v[178:179], s[20:21], v[112:113] neg_lo:[1,0,0] neg_hi:[1,0,0]
	v_pk_fma_f32 v[110:111], v[50:51], s[20:21], v[112:113]
	v_mov_b32_e32 v106, v162
	v_mov_b32_e32 v115, v111
	v_pk_mul_f32 v[116:117], v[154:155], s[34:35]
	v_pk_add_f32 v[118:119], v[48:49], v[114:115]
	v_pk_fma_f32 v[120:121], v[162:163], s[6:7], v[116:117] neg_lo:[1,0,0] neg_hi:[1,0,0]
	v_pk_fma_f32 v[114:115], v[106:107], s[6:7], v[116:117]
	v_mov_b32_e32 v147, v126
	v_mov_b32_e32 v121, v115
	v_pk_add_f32 v[122:123], v[120:121], v[118:119]
	v_mov_b32_e32 v108, v150
	v_pk_mul_f32 v[120:121], v[146:147], s[40:41]
	v_pk_mul_f32 v[148:149], v[154:155], s[30:31]
	v_pk_fma_f32 v[126:127], v[150:151], s[14:15], v[120:121] neg_lo:[1,0,0] neg_hi:[1,0,0]
	v_pk_fma_f32 v[118:119], v[108:109], s[14:15], v[120:121]
	v_pk_fma_f32 v[156:157], v[162:163], s[2:3], v[148:149] neg_lo:[1,0,0] neg_hi:[1,0,0]
	v_mov_b32_e32 v127, v119
	v_pk_add_f32 v[128:129], v[126:127], v[122:123]
	v_mov_b32_e32 v123, v177
	v_mov_b32_e32 v177, v124
	v_mov_b32_e32 v122, v125
	v_pk_mul_f32 v[126:127], v[176:177], s[30:31]
	v_pk_mul_f32 v[164:165], v[146:147], s[38:39]
	v_pk_fma_f32 v[130:131], v[122:123], s[2:3], v[126:127] neg_lo:[1,0,0] neg_hi:[1,0,0]
	v_pk_fma_f32 v[124:125], v[122:123], s[2:3], v[126:127]
	v_pk_fma_f32 v[158:159], v[150:151], s[12:13], v[164:165] neg_lo:[1,0,0] neg_hi:[1,0,0]
	v_mov_b32_e32 v131, v125
	v_pk_add_f32 v[136:137], v[130:131], v[128:129]
	v_mov_b32_e32 v129, v173
	v_mov_b32_e32 v173, v134
	v_mov_b32_e32 v128, v135
	v_pk_mul_f32 v[132:133], v[172:173], s[36:37]
	v_pk_mul_f32 v[168:169], v[176:177], s[46:47]
	v_pk_fma_f32 v[134:135], v[128:129], s[8:9], v[132:133] neg_lo:[1,0,0] neg_hi:[1,0,0]
	v_pk_fma_f32 v[130:131], v[128:129], s[8:9], v[132:133]
	v_pk_fma_f32 v[166:167], v[122:123], s[22:23], v[168:169] neg_lo:[1,0,0] neg_hi:[1,0,0]
	v_mov_b32_e32 v135, v131
	v_pk_add_f32 v[142:143], v[134:135], v[136:137]
	v_mov_b32_e32 v135, v161
	v_mov_b32_e32 v161, v138
	v_mov_b32_e32 v134, v139
	v_pk_mul_f32 v[138:139], v[160:161], s[38:39]
	v_pk_mul_f32 v[170:171], v[172:173], s[42:43]
	v_pk_fma_f32 v[144:145], v[134:135], s[12:13], v[138:139] neg_lo:[1,0,0] neg_hi:[1,0,0]
	v_pk_fma_f32 v[136:137], v[134:135], s[12:13], v[138:139]
	v_pk_fma_f32 v[174:175], v[128:129], s[16:17], v[170:171] neg_lo:[1,0,0] neg_hi:[1,0,0]
	v_mov_b32_e32 v145, v137
	v_pk_add_f32 v[142:143], v[144:145], v[142:143]
	v_pk_mul_f32 v[144:145], v[180:181], s[34:35]
	ds_write2_b64 v56, v[140:141], v[142:143] offset1:169
	v_pk_fma_f32 v[152:153], v[178:179], s[6:7], v[144:145] neg_lo:[1,0,0] neg_hi:[1,0,0]
	v_pk_fma_f32 v[140:141], v[50:51], s[6:7], v[144:145]
	v_pk_fma_f32 v[142:143], v[106:107], s[2:3], v[148:149]
	v_mov_b32_e32 v153, v141
	v_mov_b32_e32 v157, v143
	v_pk_add_f32 v[152:153], v[48:49], v[152:153]
	v_pk_mul_f32 v[186:187], v[180:181], s[40:41]
	v_pk_add_f32 v[156:157], v[156:157], v[152:153]
	v_pk_fma_f32 v[152:153], v[108:109], s[12:13], v[164:165]
	v_pk_fma_f32 v[190:191], v[178:179], s[14:15], v[186:187] neg_lo:[1,0,0] neg_hi:[1,0,0]
	v_mov_b32_e32 v159, v153
	v_pk_add_f32 v[158:159], v[158:159], v[156:157]
	v_pk_fma_f32 v[156:157], v[122:123], s[22:23], v[168:169]
	v_pk_mul_f32 v[188:189], v[154:155], s[38:39]
	v_mov_b32_e32 v167, v157
	v_pk_add_f32 v[166:167], v[166:167], v[158:159]
	v_pk_fma_f32 v[158:159], v[128:129], s[16:17], v[170:171]
	v_pk_fma_f32 v[192:193], v[162:163], s[12:13], v[188:189] neg_lo:[1,0,0] neg_hi:[1,0,0]
	v_mov_b32_e32 v175, v159
	v_pk_add_f32 v[182:183], v[174:175], v[166:167]
	v_pk_mul_f32 v[174:175], v[160:161], s[44:45]
	v_pk_mul_f32 v[196:197], v[146:147], s[54:55]
	v_pk_fma_f32 v[184:185], v[134:135], s[18:19], v[174:175] neg_lo:[1,0,0] neg_hi:[1,0,0]
	v_pk_fma_f32 v[166:167], v[134:135], s[18:19], v[174:175]
	v_pk_fma_f32 v[194:195], v[150:151], s[26:27], v[196:197] neg_lo:[1,0,0] neg_hi:[1,0,0]
	v_mov_b32_e32 v185, v167
	v_pk_add_f32 v[206:207], v[184:185], v[182:183]
	v_pk_fma_f32 v[182:183], v[50:51], s[14:15], v[186:187]
	v_pk_fma_f32 v[184:185], v[106:107], s[12:13], v[188:189]
	v_mov_b32_e32 v191, v183
	v_mov_b32_e32 v193, v185
	v_pk_add_f32 v[190:191], v[48:49], v[190:191]
	v_pk_mul_f32 v[208:209], v[176:177], s[44:45]
	v_pk_add_f32 v[192:193], v[192:193], v[190:191]
	v_pk_fma_f32 v[190:191], v[108:109], s[26:27], v[196:197]
	v_pk_fma_f32 v[198:199], v[122:123], s[18:19], v[208:209] neg_lo:[1,0,0] neg_hi:[1,0,0]
	v_mov_b32_e32 v195, v191
	v_pk_add_f32 v[194:195], v[194:195], v[192:193]
	v_pk_fma_f32 v[192:193], v[122:123], s[18:19], v[208:209]
	v_pk_mul_f32 v[210:211], v[172:173], s[34:35]
	v_mov_b32_e32 v199, v193
	v_pk_add_f32 v[198:199], v[198:199], v[194:195]
	v_pk_fma_f32 v[212:213], v[128:129], s[6:7], v[210:211] neg_lo:[1,0,0] neg_hi:[1,0,0]
	v_pk_fma_f32 v[194:195], v[128:129], s[6:7], v[210:211]
	v_pk_mul_f32 v[214:215], v[160:161], s[36:37]
	v_mov_b32_e32 v213, v195
	v_pk_add_f32 v[212:213], v[212:213], v[198:199]
	v_pk_fma_f32 v[216:217], v[134:135], s[8:9], v[214:215] neg_lo:[1,0,0] neg_hi:[1,0,0]
	v_pk_fma_f32 v[198:199], v[134:135], s[8:9], v[214:215]
	v_pk_mul_f32 v[218:219], v[154:155], s[46:47]
	v_mov_b32_e32 v217, v199
	v_pk_add_f32 v[212:213], v[216:217], v[212:213]
	ds_write2_b64 v62, v[206:207], v[212:213] offset0:82 offset1:251
	v_pk_mul_f32 v[206:207], v[180:181], s[30:31]
	v_pk_fma_f32 v[220:221], v[162:163], s[22:23], v[218:219] neg_lo:[1,0,0] neg_hi:[1,0,0]
	v_pk_fma_f32 v[212:213], v[178:179], s[2:3], v[206:207] neg_lo:[1,0,0] neg_hi:[1,0,0]
	v_pk_fma_f32 v[216:217], v[50:51], s[2:3], v[206:207]
	v_pk_fma_f32 v[222:223], v[106:107], s[22:23], v[218:219]
	v_mov_b32_e32 v213, v217
	v_mov_b32_e32 v221, v223
	v_pk_add_f32 v[212:213], v[48:49], v[212:213]
	v_mov_b32_e32 v27, v236
	v_pk_add_f32 v[212:213], v[220:221], v[212:213]
	v_pk_mul_f32 v[220:221], v[146:147], s[44:45]
	v_pk_mul_f32 v[244:245], v[154:155], s[42:43]
	v_pk_fma_f32 v[224:225], v[150:151], s[18:19], v[220:221] neg_lo:[1,0,0] neg_hi:[1,0,0]
	v_pk_fma_f32 v[226:227], v[108:109], s[18:19], v[220:221]
	v_pk_fma_f32 v[246:247], v[162:163], s[16:17], v[244:245] neg_lo:[1,0,0] neg_hi:[1,0,0]
	v_mov_b32_e32 v225, v227
	v_pk_add_f32 v[212:213], v[224:225], v[212:213]
	v_pk_mul_f32 v[224:225], v[176:177], s[40:41]
	v_pk_fma_f32 v[248:249], v[106:107], s[16:17], v[244:245]
	v_pk_fma_f32 v[228:229], v[122:123], s[14:15], v[224:225] neg_lo:[1,0,0] neg_hi:[1,0,0]
	v_pk_fma_f32 v[230:231], v[122:123], s[14:15], v[224:225]
	v_mov_b32_e32 v247, v249
	v_mov_b32_e32 v229, v231
	v_pk_add_f32 v[212:213], v[228:229], v[212:213]
	v_pk_mul_f32 v[228:229], v[172:173], s[52:53]
	v_mov_b32_e32 v31, v201
	v_pk_fma_f32 v[232:233], v[128:129], s[28:29], v[228:229] neg_lo:[1,0,0] neg_hi:[1,0,0]
	v_pk_fma_f32 v[234:235], v[128:129], s[28:29], v[228:229]
	v_pk_mul_f32 v[8:9], v[180:181], s[38:39]
	v_mov_b32_e32 v233, v235
	v_pk_add_f32 v[212:213], v[232:233], v[212:213]
	v_pk_mul_f32 v[232:233], v[160:161], s[50:51]
	v_pk_mul_f32 v[154:155], v[154:155], s[44:45]
	v_pk_fma_f32 v[236:237], v[134:135], s[24:25], v[232:233] neg_lo:[1,0,0] neg_hi:[1,0,0]
	v_pk_fma_f32 v[238:239], v[134:135], s[24:25], v[232:233]
	v_pk_fma_f32 v[162:163], v[162:163], s[18:19], v[154:155] neg_lo:[1,0,0] neg_hi:[1,0,0]
	v_mov_b32_e32 v237, v239
	v_pk_add_f32 v[212:213], v[236:237], v[212:213]
	v_pk_mul_f32 v[236:237], v[180:181], s[36:37]
	v_pk_fma_f32 v[180:181], v[106:107], s[18:19], v[154:155]
	v_pk_fma_f32 v[240:241], v[178:179], s[8:9], v[236:237] neg_lo:[1,0,0] neg_hi:[1,0,0]
	v_pk_fma_f32 v[242:243], v[50:51], s[8:9], v[236:237]
	v_mov_b32_e32 v163, v181
	v_mov_b32_e32 v241, v243
	v_pk_add_f32 v[240:241], v[48:49], v[240:241]
	v_pk_mul_f32 v[14:15], v[160:161], s[42:43]
	v_pk_add_f32 v[240:241], v[246:247], v[240:241]
	v_pk_mul_f32 v[246:247], v[146:147], s[34:35]
	v_pk_mul_f32 v[146:147], v[146:147], s[36:37]
	v_pk_fma_f32 v[250:251], v[150:151], s[6:7], v[246:247] neg_lo:[1,0,0] neg_hi:[1,0,0]
	v_pk_fma_f32 v[252:253], v[108:109], s[6:7], v[246:247]
	v_pk_fma_f32 v[150:151], v[150:151], s[8:9], v[146:147] neg_lo:[1,0,0] neg_hi:[1,0,0]
	v_mov_b32_e32 v251, v253
	v_pk_add_f32 v[240:241], v[250:251], v[240:241]
	v_pk_mul_f32 v[250:251], v[176:177], s[52:53]
	s_mov_b32 s34, s21
	v_pk_fma_f32 v[254:255], v[122:123], s[28:29], v[250:251] neg_lo:[1,0,0] neg_hi:[1,0,0]
	v_pk_fma_f32 v[200:201], v[122:123], s[28:29], v[250:251]
	s_mov_b32 s36, s3
	v_mov_b32_e32 v255, v201
	v_pk_add_f32 v[240:241], v[254:255], v[240:241]
	v_pk_mul_f32 v[254:255], v[172:173], s[44:45]
	v_pk_mul_f32 v[172:173], v[172:173], s[30:31]
	v_pk_fma_f32 v[0:1], v[128:129], s[18:19], v[254:255] neg_lo:[1,0,0] neg_hi:[1,0,0]
	v_pk_fma_f32 v[4:5], v[128:129], s[18:19], v[254:255]
	s_mov_b32 s38, s9
	v_mov_b32_e32 v1, v5
	v_pk_add_f32 v[6:7], v[0:1], v[240:241]
	v_pk_mul_f32 v[240:241], v[160:161], s[30:31]
	v_pk_fma_f32 v[160:161], v[134:135], s[16:17], v[14:15] neg_lo:[1,0,0] neg_hi:[1,0,0]
	v_pk_fma_f32 v[0:1], v[134:135], s[2:3], v[240:241] neg_lo:[1,0,0] neg_hi:[1,0,0]
	v_pk_fma_f32 v[2:3], v[134:135], s[2:3], v[240:241]
	s_mov_b32 s30, s7
	v_mov_b32_e32 v1, v3
	v_pk_add_f32 v[0:1], v[0:1], v[6:7]
	v_pk_fma_f32 v[6:7], v[178:179], s[12:13], v[8:9] neg_lo:[1,0,0] neg_hi:[1,0,0]
	v_pk_fma_f32 v[178:179], v[50:51], s[12:13], v[8:9]
	v_pk_fma_f32 v[8:9], v[50:51], s[12:13], v[8:9] neg_lo:[0,0,1] neg_hi:[0,0,1]
	v_mov_b32_e32 v7, v179
	v_pk_add_f32 v[6:7], v[48:49], v[6:7]
	ds_write2_b64 v23, v[212:213], v[0:1] offset0:36 offset1:205
	v_pk_add_f32 v[6:7], v[162:163], v[6:7]
	v_pk_fma_f32 v[162:163], v[108:109], s[8:9], v[146:147]
	v_mov_b32_e32 v179, v9
	v_mov_b32_e32 v151, v163
	v_pk_add_f32 v[6:7], v[150:151], v[6:7]
	v_pk_mul_f32 v[150:151], v[176:177], s[50:51]
	v_pk_fma_f32 v[8:9], v[106:107], s[18:19], v[154:155] neg_lo:[0,0,1] neg_hi:[0,0,1]
	v_pk_fma_f32 v[176:177], v[122:123], s[24:25], v[150:151] neg_lo:[1,0,0] neg_hi:[1,0,0]
	v_pk_fma_f32 v[212:213], v[122:123], s[24:25], v[150:151]
	v_mov_b32_e32 v181, v9
	v_mov_b32_e32 v177, v213
	v_pk_fma_f32 v[8:9], v[108:109], s[8:9], v[146:147] neg_lo:[0,0,1] neg_hi:[0,0,1]
	v_pk_add_f32 v[6:7], v[176:177], v[6:7]
	v_pk_fma_f32 v[176:177], v[128:129], s[2:3], v[172:173] neg_lo:[1,0,0] neg_hi:[1,0,0]
	v_pk_fma_f32 v[0:1], v[128:129], s[2:3], v[172:173]
	v_mov_b32_e32 v163, v9
	v_pk_fma_f32 v[8:9], v[122:123], s[24:25], v[150:151] neg_lo:[0,0,1] neg_hi:[0,0,1]
	v_mov_b32_e32 v177, v1
	v_mov_b32_e32 v213, v9
	v_pk_fma_f32 v[8:9], v[128:129], s[2:3], v[172:173] neg_lo:[0,0,1] neg_hi:[0,0,1]
	v_pk_add_f32 v[6:7], v[176:177], v[6:7]
	v_pk_fma_f32 v[176:177], v[134:135], s[16:17], v[14:15]
	v_mov_b32_e32 v1, v9
	v_pk_fma_f32 v[8:9], v[134:135], s[16:17], v[14:15] neg_lo:[0,0,1] neg_hi:[0,0,1]
	v_mov_b32_e32 v161, v177
	v_mov_b32_e32 v177, v9
	v_pk_add_f32 v[8:9], v[48:49], v[178:179]
	v_pk_add_f32 v[6:7], v[160:161], v[6:7]
	;; [unrolled: 1-line block ×3, first 2 shown]
	s_mov_b32 s40, s13
	v_pk_add_f32 v[8:9], v[162:163], v[8:9]
	s_nop 0
	v_pk_add_f32 v[8:9], v[212:213], v[8:9]
	s_nop 0
	;; [unrolled: 2-line block ×3, first 2 shown]
	v_pk_add_f32 v[0:1], v[176:177], v[0:1]
	ds_write2_b64 v27, v[6:7], v[0:1] offset0:54 offset1:223
	v_pk_fma_f32 v[0:1], v[50:51], s[8:9], v[236:237] neg_lo:[0,0,1] neg_hi:[0,0,1]
	s_nop 0
	v_mov_b32_e32 v243, v1
	v_pk_fma_f32 v[0:1], v[106:107], s[16:17], v[244:245] neg_lo:[0,0,1] neg_hi:[0,0,1]
	v_mov_b32_e32 v244, v19
	v_mov_b32_e32 v249, v1
	v_pk_fma_f32 v[0:1], v[108:109], s[6:7], v[246:247] neg_lo:[0,0,1] neg_hi:[0,0,1]
	v_mov_b32_e32 v247, v23
	;; [unrolled: 3-line block ×4, first 2 shown]
	v_mov_b32_e32 v5, v1
	v_pk_fma_f32 v[0:1], v[134:135], s[2:3], v[240:241] neg_lo:[0,0,1] neg_hi:[0,0,1]
	s_nop 0
	v_mov_b32_e32 v3, v1
	v_pk_add_f32 v[0:1], v[48:49], v[242:243]
	s_nop 0
	v_pk_add_f32 v[0:1], v[248:249], v[0:1]
	s_nop 0
	v_pk_add_f32 v[0:1], v[252:253], v[0:1]
	s_nop 0
	v_pk_add_f32 v[0:1], v[200:201], v[0:1]
	s_nop 0
	v_pk_add_f32 v[0:1], v[4:5], v[0:1]
	s_nop 0
	v_pk_add_f32 v[0:1], v[2:3], v[0:1]
	v_pk_fma_f32 v[2:3], v[50:51], s[2:3], v[206:207] neg_lo:[0,0,1] neg_hi:[0,0,1]
	s_nop 0
	v_mov_b32_e32 v217, v3
	v_pk_fma_f32 v[2:3], v[106:107], s[22:23], v[218:219] neg_lo:[0,0,1] neg_hi:[0,0,1]
	s_nop 0
	v_mov_b32_e32 v223, v3
	;; [unrolled: 3-line block ×6, first 2 shown]
	v_pk_add_f32 v[2:3], v[48:49], v[216:217]
	s_nop 0
	v_pk_add_f32 v[2:3], v[222:223], v[2:3]
	s_nop 0
	;; [unrolled: 2-line block ×5, first 2 shown]
	v_pk_add_f32 v[2:3], v[238:239], v[2:3]
	ds_write2_b64 v31, v[0:1], v[2:3] offset0:72 offset1:241
	v_pk_fma_f32 v[0:1], v[50:51], s[14:15], v[186:187] neg_lo:[0,0,1] neg_hi:[0,0,1]
	v_pk_fma_f32 v[2:3], v[50:51], s[6:7], v[144:145] neg_lo:[0,0,1] neg_hi:[0,0,1]
	v_mov_b32_e32 v183, v1
	v_pk_fma_f32 v[0:1], v[106:107], s[12:13], v[188:189] neg_lo:[0,0,1] neg_hi:[0,0,1]
	v_mov_b32_e32 v141, v3
	;; [unrolled: 2-line block ×11, first 2 shown]
	v_pk_add_f32 v[0:1], v[48:49], v[182:183]
	v_mov_b32_e32 v167, v3
	v_pk_add_f32 v[2:3], v[48:49], v[140:141]
	v_pk_add_f32 v[0:1], v[184:185], v[0:1]
	;; [unrolled: 1-line block ×11, first 2 shown]
	ds_write2_b64 v19, v[0:1], v[2:3] offset0:26 offset1:195
	v_pk_fma_f32 v[0:1], v[50:51], s[20:21], v[112:113] neg_lo:[0,0,1] neg_hi:[0,0,1]
	v_pk_fma_f32 v[2:3], v[106:107], s[6:7], v[116:117] neg_lo:[0,0,1] neg_hi:[0,0,1]
	v_mov_b32_e32 v111, v1
	v_pk_add_f32 v[0:1], v[48:49], v[110:111]
	v_mov_b32_e32 v115, v3
	v_pk_fma_f32 v[2:3], v[108:109], s[14:15], v[120:121] neg_lo:[0,0,1] neg_hi:[0,0,1]
	v_pk_add_f32 v[0:1], v[114:115], v[0:1]
	v_mov_b32_e32 v119, v3
	v_pk_fma_f32 v[2:3], v[122:123], s[2:3], v[126:127] neg_lo:[0,0,1] neg_hi:[0,0,1]
	;; [unrolled: 3-line block ×4, first 2 shown]
	v_pk_add_f32 v[0:1], v[130:131], v[0:1]
	v_mov_b32_e32 v137, v3
	v_pk_add_f32 v[0:1], v[136:137], v[0:1]
	ds_write_b64 v56, v[0:1] offset:16224
	v_add_co_u32_e32 v0, vcc, s10, v84
	s_waitcnt lgkmcnt(0)
	s_nop 0
	v_addc_co_u32_e32 v1, vcc, 0, v85, vcc
	s_barrier
	global_load_dwordx2 v[0:1], v[0:1], off offset:1192
	s_mov_b64 s[10:11], 0x44a8
	v_lshl_add_u64 v[2:3], v[84:85], 0, s[10:11]
	global_load_dwordx2 v[4:5], v[2:3], off offset:1352
	global_load_dwordx2 v[6:7], v[2:3], off offset:2704
	;; [unrolled: 1-line block ×3, first 2 shown]
	s_movk_i32 s10, 0x5000
	v_add_co_u32_e32 v2, vcc, s10, v84
	s_movk_i32 s10, 0x6000
	s_nop 0
	v_addc_co_u32_e32 v3, vcc, 0, v85, vcc
	global_load_dwordx2 v[14:15], v[2:3], off offset:2504
	global_load_dwordx2 v[110:111], v[2:3], off offset:3856
	v_add_co_u32_e32 v2, vcc, s10, v84
	s_movk_i32 s10, 0x7000
	s_nop 0
	v_addc_co_u32_e32 v3, vcc, 0, v85, vcc
	global_load_dwordx2 v[112:113], v[2:3], off offset:1112
	global_load_dwordx2 v[114:115], v[2:3], off offset:2464
	;; [unrolled: 1-line block ×3, first 2 shown]
	v_add_co_u32_e32 v2, vcc, s10, v84
	s_mov_b32 s10, 0x8000
	s_nop 0
	v_addc_co_u32_e32 v3, vcc, 0, v85, vcc
	global_load_dwordx2 v[118:119], v[2:3], off offset:1072
	global_load_dwordx2 v[120:121], v[2:3], off offset:2424
	;; [unrolled: 1-line block ×3, first 2 shown]
	v_add_co_u32_e32 v2, vcc, s10, v84
	ds_read2_b64 v[48:51], v56 offset1:169
	s_nop 0
	v_addc_co_u32_e32 v3, vcc, 0, v85, vcc
	global_load_dwordx2 v[2:3], v[2:3], off offset:1032
	s_mov_b32 s10, s15
	s_waitcnt vmcnt(12) lgkmcnt(0)
	v_mul_f32_e32 v19, v49, v1
	v_mul_f32_e32 v85, v48, v1
	v_fma_f32 v84, v48, v0, -v19
	v_fmac_f32_e32 v85, v49, v0
	s_waitcnt vmcnt(11)
	v_mul_f32_e32 v0, v51, v5
	v_mul_f32_e32 v1, v50, v5
	v_fma_f32 v0, v50, v4, -v0
	v_fmac_f32_e32 v1, v51, v4
	ds_write2_b64 v56, v[84:85], v[0:1] offset1:169
	ds_read2_b64 v[48:51], v62 offset0:82 offset1:251
	ds_read2_b64 v[106:109], v23 offset0:36 offset1:205
	s_waitcnt vmcnt(10) lgkmcnt(1)
	v_mul_f32_e32 v0, v49, v7
	v_mul_f32_e32 v1, v48, v7
	s_waitcnt vmcnt(9)
	v_mul_f32_e32 v4, v51, v9
	v_mul_f32_e32 v5, v50, v9
	v_fma_f32 v0, v48, v6, -v0
	v_fmac_f32_e32 v1, v49, v6
	v_fma_f32 v4, v50, v8, -v4
	v_fmac_f32_e32 v5, v51, v8
	ds_read2_b64 v[48:51], v27 offset0:54 offset1:223
	s_waitcnt vmcnt(8) lgkmcnt(1)
	v_mul_f32_e32 v6, v107, v15
	v_mul_f32_e32 v7, v106, v15
	s_waitcnt vmcnt(7)
	v_mul_f32_e32 v8, v109, v111
	v_mul_f32_e32 v9, v108, v111
	v_fma_f32 v6, v106, v14, -v6
	v_fmac_f32_e32 v7, v107, v14
	v_fma_f32 v8, v108, v110, -v8
	v_fmac_f32_e32 v9, v109, v110
	;; [unrolled: 11-line block ×3, first 2 shown]
	ds_read2_b64 v[48:51], v244 offset0:26 offset1:195
	ds_write2_b64 v62, v[0:1], v[4:5] offset0:82 offset1:251
	ds_read_b64 v[0:1], v56 offset:16224
	s_waitcnt vmcnt(4) lgkmcnt(3)
	v_mul_f32_e32 v19, v107, v117
	v_mul_f32_e32 v111, v106, v117
	v_fma_f32 v110, v106, v116, -v19
	v_fmac_f32_e32 v111, v107, v116
	s_waitcnt vmcnt(3)
	v_mul_f32_e32 v19, v109, v119
	v_mul_f32_e32 v107, v108, v119
	v_fma_f32 v106, v108, v118, -v19
	v_fmac_f32_e32 v107, v109, v118
	s_waitcnt vmcnt(2) lgkmcnt(2)
	v_mul_f32_e32 v19, v49, v121
	v_mul_f32_e32 v109, v48, v121
	v_fma_f32 v108, v48, v120, -v19
	v_fmac_f32_e32 v109, v49, v120
	s_waitcnt vmcnt(1)
	v_mul_f32_e32 v19, v51, v123
	v_mul_f32_e32 v49, v50, v123
	s_waitcnt vmcnt(0) lgkmcnt(0)
	v_mul_f32_e32 v4, v1, v3
	v_mul_f32_e32 v5, v0, v3
	v_fma_f32 v48, v50, v122, -v19
	v_fmac_f32_e32 v49, v51, v122
	v_fma_f32 v4, v0, v2, -v4
	v_fmac_f32_e32 v5, v1, v2
	ds_write2_b64 v23, v[6:7], v[8:9] offset0:36 offset1:205
	ds_write2_b64 v27, v[14:15], v[84:85] offset0:54 offset1:223
	;; [unrolled: 1-line block ×4, first 2 shown]
	ds_write_b64 v56, v[4:5] offset:16224
	s_waitcnt lgkmcnt(0)
	s_barrier
	ds_read2_b64 v[48:51], v56 offset1:169
	ds_read2_b64 v[106:109], v62 offset0:82 offset1:251
	ds_read2_b64 v[110:113], v23 offset0:36 offset1:205
	;; [unrolled: 1-line block ×4, first 2 shown]
	s_waitcnt lgkmcnt(4)
	v_pk_add_f32 v[0:1], v[48:49], v[50:51]
	ds_read_b64 v[6:7], v56 offset:16224
	s_waitcnt lgkmcnt(4)
	v_pk_add_f32 v[0:1], v[0:1], v[106:107]
	s_waitcnt lgkmcnt(2)
	v_pk_add_f32 v[146:147], v[116:117], v[110:111]
	v_pk_add_f32 v[0:1], v[0:1], v[108:109]
	v_pk_add_f32 v[156:157], v[110:111], v[116:117] neg_lo:[0,1] neg_hi:[0,1]
	v_pk_add_f32 v[0:1], v[0:1], v[110:111]
	v_pk_add_f32 v[152:153], v[114:115], v[112:113]
	;; [unrolled: 1-line block ×3, first 2 shown]
	v_pk_add_f32 v[154:155], v[112:113], v[114:115] neg_lo:[0,1] neg_hi:[0,1]
	ds_read2_b64 v[110:113], v244 offset0:26 offset1:195
	s_waitcnt lgkmcnt(2)
	v_pk_add_f32 v[0:1], v[0:1], v[122:123]
	s_waitcnt lgkmcnt(1)
	v_pk_add_f32 v[158:159], v[6:7], v[50:51]
	v_pk_add_f32 v[0:1], v[0:1], v[124:125]
	v_pk_add_f32 v[162:163], v[122:123], v[124:125] neg_lo:[0,1] neg_hi:[0,1]
	v_pk_add_f32 v[0:1], v[0:1], v[114:115]
	s_waitcnt lgkmcnt(0)
	v_pk_add_f32 v[4:5], v[106:107], v[112:113] neg_lo:[0,1] neg_hi:[0,1]
	v_pk_add_f32 v[0:1], v[0:1], v[116:117]
	v_pk_add_f32 v[2:3], v[112:113], v[106:107]
	;; [unrolled: 1-line block ×5, first 2 shown]
	v_pk_add_f32 v[14:15], v[108:109], v[110:111] neg_lo:[0,1] neg_hi:[0,1]
	v_pk_add_f32 v[0:1], v[0:1], v[6:7]
	v_pk_add_f32 v[6:7], v[50:51], v[6:7] neg_lo:[0,1] neg_hi:[0,1]
	v_pk_mul_f32 v[108:109], v[4:5], s[6:7] op_sel_hi:[1,0]
	v_pk_mul_f32 v[84:85], v[6:7], s[20:21] op_sel_hi:[1,0]
	v_pk_add_f32 v[160:161], v[124:125], v[122:123]
	v_pk_fma_f32 v[50:51], v[158:159], s[34:35], v[84:85] op_sel:[0,0,1] op_sel_hi:[1,0,0]
	v_pk_fma_f32 v[84:85], v[158:159], s[34:35], v[84:85] op_sel:[0,0,1] op_sel_hi:[1,0,0] neg_lo:[0,0,1] neg_hi:[0,0,1]
	v_mov_b32_e32 v106, v50
	v_mov_b32_e32 v107, v85
	v_pk_add_f32 v[110:111], v[48:49], v[106:107]
	v_pk_fma_f32 v[106:107], v[2:3], s[30:31], v[108:109] op_sel:[0,0,1] op_sel_hi:[1,0,0]
	v_pk_fma_f32 v[108:109], v[2:3], s[30:31], v[108:109] op_sel:[0,0,1] op_sel_hi:[1,0,0] neg_lo:[0,0,1] neg_hi:[0,0,1]
	v_mov_b32_e32 v112, v106
	v_mov_b32_e32 v113, v109
	v_pk_add_f32 v[114:115], v[112:113], v[110:111]
	v_pk_mul_f32 v[112:113], v[14:15], s[14:15] op_sel_hi:[1,0]
	v_pk_mul_f32 v[124:125], v[162:163], s[12:13] op_sel_hi:[1,0]
	v_pk_fma_f32 v[110:111], v[8:9], s[10:11], v[112:113] op_sel:[0,0,1] op_sel_hi:[1,0,0]
	v_pk_fma_f32 v[112:113], v[8:9], s[10:11], v[112:113] op_sel:[0,0,1] op_sel_hi:[1,0,0] neg_lo:[0,0,1] neg_hi:[0,0,1]
	v_mov_b32_e32 v116, v110
	v_mov_b32_e32 v117, v113
	v_pk_add_f32 v[118:119], v[116:117], v[114:115]
	v_pk_mul_f32 v[116:117], v[156:157], s[2:3] op_sel_hi:[1,0]
	v_pk_fma_f32 v[122:123], v[160:161], s[40:41], v[124:125] op_sel:[0,0,1] op_sel_hi:[1,0,0]
	v_pk_fma_f32 v[114:115], v[146:147], s[36:37], v[116:117] op_sel:[0,0,1] op_sel_hi:[1,0,0]
	v_pk_fma_f32 v[116:117], v[146:147], s[36:37], v[116:117] op_sel:[0,0,1] op_sel_hi:[1,0,0] neg_lo:[0,0,1] neg_hi:[0,0,1]
	v_mov_b32_e32 v120, v114
	v_mov_b32_e32 v121, v117
	v_pk_add_f32 v[126:127], v[120:121], v[118:119]
	v_pk_mul_f32 v[120:121], v[154:155], s[8:9] op_sel_hi:[1,0]
	v_pk_fma_f32 v[124:125], v[160:161], s[40:41], v[124:125] op_sel:[0,0,1] op_sel_hi:[1,0,0] neg_lo:[0,0,1] neg_hi:[0,0,1]
	v_pk_fma_f32 v[118:119], v[152:153], s[38:39], v[120:121] op_sel:[0,0,1] op_sel_hi:[1,0,0]
	v_pk_fma_f32 v[120:121], v[152:153], s[38:39], v[120:121] op_sel:[0,0,1] op_sel_hi:[1,0,0] neg_lo:[0,0,1] neg_hi:[0,0,1]
	v_mov_b32_e32 v128, v118
	v_mov_b32_e32 v129, v121
	v_pk_add_f32 v[126:127], v[128:129], v[126:127]
	v_mov_b32_e32 v128, v122
	v_mov_b32_e32 v129, v125
	v_pk_add_f32 v[126:127], v[128:129], v[126:127]
	s_barrier
	ds_write2_b64 v63, v[0:1], v[126:127] offset1:1
	v_pk_mul_f32 v[0:1], v[6:7], s[6:7] op_sel_hi:[1,0]
	v_pk_mul_f32 v[130:131], v[4:5], s[2:3] op_sel_hi:[1,0]
	v_pk_fma_f32 v[128:129], v[158:159], s[30:31], v[0:1] op_sel:[0,0,1] op_sel_hi:[1,0,0]
	v_pk_fma_f32 v[126:127], v[158:159], s[30:31], v[0:1] op_sel:[0,0,1] op_sel_hi:[1,0,0] neg_lo:[0,0,1] neg_hi:[0,0,1]
	v_mov_b32_e32 v0, v128
	v_mov_b32_e32 v1, v127
	v_pk_fma_f32 v[132:133], v[2:3], s[36:37], v[130:131] op_sel:[0,0,1] op_sel_hi:[1,0,0]
	v_pk_fma_f32 v[130:131], v[2:3], s[36:37], v[130:131] op_sel:[0,0,1] op_sel_hi:[1,0,0] neg_lo:[0,0,1] neg_hi:[0,0,1]
	v_pk_add_f32 v[0:1], v[48:49], v[0:1]
	v_mov_b32_e32 v134, v132
	v_mov_b32_e32 v135, v131
	v_pk_mul_f32 v[136:137], v[14:15], s[12:13] op_sel_hi:[1,0]
	v_pk_add_f32 v[0:1], v[134:135], v[0:1]
	v_pk_fma_f32 v[134:135], v[8:9], s[40:41], v[136:137] op_sel:[0,0,1] op_sel_hi:[1,0,0]
	v_pk_fma_f32 v[136:137], v[8:9], s[40:41], v[136:137] op_sel:[0,0,1] op_sel_hi:[1,0,0] neg_lo:[0,0,1] neg_hi:[0,0,1]
	v_mov_b32_e32 v138, v134
	v_mov_b32_e32 v139, v137
	v_pk_mul_f32 v[140:141], v[156:157], s[22:23] op_sel_hi:[1,0]
	v_pk_add_f32 v[0:1], v[138:139], v[0:1]
	v_pk_fma_f32 v[138:139], v[146:147], s[38:39], v[140:141] op_sel:[0,0,1] op_sel_hi:[1,0,0]
	v_pk_fma_f32 v[140:141], v[146:147], s[38:39], v[140:141] op_sel:[0,0,1] op_sel_hi:[1,0,0] neg_lo:[0,0,1] neg_hi:[0,0,1]
	;; [unrolled: 6-line block ×4, first 2 shown]
	v_mov_b32_e32 v164, v148
	v_mov_b32_e32 v165, v151
	v_pk_add_f32 v[0:1], v[164:165], v[0:1]
	v_pk_mul_f32 v[164:165], v[6:7], s[14:15] op_sel_hi:[1,0]
	v_pk_mul_f32 v[170:171], v[4:5], s[12:13] op_sel_hi:[1,0]
	v_pk_fma_f32 v[166:167], v[158:159], s[10:11], v[164:165] op_sel:[0,0,1] op_sel_hi:[1,0,0]
	v_pk_fma_f32 v[164:165], v[158:159], s[10:11], v[164:165] op_sel:[0,0,1] op_sel_hi:[1,0,0] neg_lo:[0,0,1] neg_hi:[0,0,1]
	v_mov_b32_e32 v168, v166
	v_mov_b32_e32 v169, v165
	v_pk_fma_f32 v[172:173], v[2:3], s[40:41], v[170:171] op_sel:[0,0,1] op_sel_hi:[1,0,0]
	v_pk_fma_f32 v[170:171], v[2:3], s[40:41], v[170:171] op_sel:[0,0,1] op_sel_hi:[1,0,0] neg_lo:[0,0,1] neg_hi:[0,0,1]
	v_pk_add_f32 v[168:169], v[48:49], v[168:169]
	v_mov_b32_e32 v174, v172
	v_mov_b32_e32 v175, v171
	v_pk_add_f32 v[168:169], v[174:175], v[168:169]
	v_pk_mul_f32 v[174:175], v[14:15], s[26:27] op_sel_hi:[1,0]
	v_pk_mul_f32 v[192:193], v[4:5], s[22:23] op_sel_hi:[1,0]
	v_pk_fma_f32 v[176:177], v[8:9], s[36:37], v[174:175] op_sel:[0,0,1] op_sel_hi:[1,0,0]
	v_pk_fma_f32 v[174:175], v[8:9], s[36:37], v[174:175] op_sel:[0,0,1] op_sel_hi:[1,0,0] neg_lo:[0,0,1] neg_hi:[0,0,1]
	v_mov_b32_e32 v178, v176
	v_mov_b32_e32 v179, v175
	v_pk_add_f32 v[168:169], v[178:179], v[168:169]
	v_pk_mul_f32 v[178:179], v[156:157], s[18:19] op_sel_hi:[1,0]
	v_pk_fma_f32 v[194:195], v[2:3], s[38:39], v[192:193] op_sel:[0,0,1] op_sel_hi:[1,0,0]
	v_pk_fma_f32 v[180:181], v[146:147], s[34:35], v[178:179] op_sel:[0,0,1] op_sel_hi:[1,0,0]
	v_pk_fma_f32 v[178:179], v[146:147], s[34:35], v[178:179] op_sel:[0,0,1] op_sel_hi:[1,0,0] neg_lo:[0,0,1] neg_hi:[0,0,1]
	v_mov_b32_e32 v182, v180
	v_mov_b32_e32 v183, v179
	v_pk_add_f32 v[168:169], v[182:183], v[168:169]
	v_pk_mul_f32 v[182:183], v[154:155], s[6:7] op_sel_hi:[1,0]
	v_pk_fma_f32 v[192:193], v[2:3], s[38:39], v[192:193] op_sel:[0,0,1] op_sel_hi:[1,0,0] neg_lo:[0,0,1] neg_hi:[0,0,1]
	v_pk_fma_f32 v[184:185], v[152:153], s[30:31], v[182:183] op_sel:[0,0,1] op_sel_hi:[1,0,0]
	v_pk_fma_f32 v[182:183], v[152:153], s[30:31], v[182:183] op_sel:[0,0,1] op_sel_hi:[1,0,0] neg_lo:[0,0,1] neg_hi:[0,0,1]
	v_mov_b32_e32 v186, v184
	v_mov_b32_e32 v187, v183
	v_pk_add_f32 v[168:169], v[186:187], v[168:169]
	v_pk_mul_f32 v[186:187], v[162:163], s[8:9] op_sel_hi:[1,0]
	v_mov_b32_e32 v196, v194
	v_pk_fma_f32 v[188:189], v[160:161], s[38:39], v[186:187] op_sel:[0,0,1] op_sel_hi:[1,0,0]
	v_pk_fma_f32 v[186:187], v[160:161], s[38:39], v[186:187] op_sel:[0,0,1] op_sel_hi:[1,0,0] neg_lo:[0,0,1] neg_hi:[0,0,1]
	v_mov_b32_e32 v190, v188
	v_mov_b32_e32 v191, v187
	v_pk_add_f32 v[168:169], v[190:191], v[168:169]
	ds_write2_b64 v63, v[0:1], v[168:169] offset0:2 offset1:3
	v_pk_mul_f32 v[0:1], v[6:7], s[2:3] op_sel_hi:[1,0]
	v_mov_b32_e32 v197, v193
	v_pk_fma_f32 v[168:169], v[158:159], s[36:37], v[0:1] op_sel:[0,0,1] op_sel_hi:[1,0,0]
	v_pk_fma_f32 v[0:1], v[158:159], s[36:37], v[0:1] op_sel:[0,0,1] op_sel_hi:[1,0,0] neg_lo:[0,0,1] neg_hi:[0,0,1]
	v_mov_b32_e32 v190, v168
	v_mov_b32_e32 v191, v1
	v_pk_add_f32 v[190:191], v[48:49], v[190:191]
	v_pk_mul_f32 v[222:223], v[4:5], s[16:17] op_sel_hi:[1,0]
	v_pk_add_f32 v[190:191], v[196:197], v[190:191]
	v_pk_mul_f32 v[196:197], v[14:15], s[18:19] op_sel_hi:[1,0]
	v_pk_fma_f32 v[224:225], v[2:3], s[10:11], v[222:223] op_sel:[0,0,1] op_sel_hi:[1,0,0]
	v_pk_fma_f32 v[198:199], v[8:9], s[34:35], v[196:197] op_sel:[0,0,1] op_sel_hi:[1,0,0]
	v_pk_fma_f32 v[196:197], v[8:9], s[34:35], v[196:197] op_sel:[0,0,1] op_sel_hi:[1,0,0] neg_lo:[0,0,1] neg_hi:[0,0,1]
	v_mov_b32_e32 v200, v198
	v_mov_b32_e32 v201, v197
	v_pk_add_f32 v[190:191], v[200:201], v[190:191]
	v_pk_mul_f32 v[200:201], v[156:157], s[14:15] op_sel_hi:[1,0]
	v_pk_fma_f32 v[222:223], v[2:3], s[10:11], v[222:223] op_sel:[0,0,1] op_sel_hi:[1,0,0] neg_lo:[0,0,1] neg_hi:[0,0,1]
	v_pk_fma_f32 v[206:207], v[146:147], s[10:11], v[200:201] op_sel:[0,0,1] op_sel_hi:[1,0,0]
	v_pk_fma_f32 v[200:201], v[146:147], s[10:11], v[200:201] op_sel:[0,0,1] op_sel_hi:[1,0,0] neg_lo:[0,0,1] neg_hi:[0,0,1]
	v_mov_b32_e32 v208, v206
	v_mov_b32_e32 v209, v201
	v_pk_add_f32 v[190:191], v[208:209], v[190:191]
	v_pk_mul_f32 v[208:209], v[154:155], s[28:29] op_sel_hi:[1,0]
	v_mov_b32_e32 v226, v224
	v_pk_fma_f32 v[210:211], v[152:153], s[40:41], v[208:209] op_sel:[0,0,1] op_sel_hi:[1,0,0]
	v_pk_fma_f32 v[208:209], v[152:153], s[40:41], v[208:209] op_sel:[0,0,1] op_sel_hi:[1,0,0] neg_lo:[0,0,1] neg_hi:[0,0,1]
	v_mov_b32_e32 v212, v210
	v_mov_b32_e32 v213, v209
	v_pk_add_f32 v[190:191], v[212:213], v[190:191]
	v_pk_mul_f32 v[212:213], v[162:163], s[24:25] op_sel_hi:[1,0]
	v_mov_b32_e32 v227, v223
	v_pk_fma_f32 v[214:215], v[160:161], s[30:31], v[212:213] op_sel:[0,0,1] op_sel_hi:[1,0,0]
	v_pk_fma_f32 v[212:213], v[160:161], s[30:31], v[212:213] op_sel:[0,0,1] op_sel_hi:[1,0,0] neg_lo:[0,0,1] neg_hi:[0,0,1]
	v_mov_b32_e32 v216, v214
	v_mov_b32_e32 v217, v213
	v_pk_add_f32 v[190:191], v[216:217], v[190:191]
	v_pk_mul_f32 v[216:217], v[6:7], s[8:9] op_sel_hi:[1,0]
	v_pk_mul_f32 v[6:7], v[6:7], s[12:13] op_sel_hi:[1,0]
	v_pk_fma_f32 v[218:219], v[158:159], s[38:39], v[216:217] op_sel:[0,0,1] op_sel_hi:[1,0,0]
	v_pk_fma_f32 v[216:217], v[158:159], s[38:39], v[216:217] op_sel:[0,0,1] op_sel_hi:[1,0,0] neg_lo:[0,0,1] neg_hi:[0,0,1]
	v_mov_b32_e32 v220, v218
	v_mov_b32_e32 v221, v217
	v_pk_add_f32 v[220:221], v[48:49], v[220:221]
	v_pk_mul_f32 v[4:5], v[4:5], s[18:19] op_sel_hi:[1,0]
	v_pk_add_f32 v[220:221], v[226:227], v[220:221]
	v_pk_mul_f32 v[226:227], v[14:15], s[6:7] op_sel_hi:[1,0]
	v_pk_mul_f32 v[14:15], v[14:15], s[8:9] op_sel_hi:[1,0]
	v_pk_fma_f32 v[228:229], v[8:9], s[30:31], v[226:227] op_sel:[0,0,1] op_sel_hi:[1,0,0]
	v_pk_fma_f32 v[226:227], v[8:9], s[30:31], v[226:227] op_sel:[0,0,1] op_sel_hi:[1,0,0] neg_lo:[0,0,1] neg_hi:[0,0,1]
	v_mov_b32_e32 v230, v228
	v_mov_b32_e32 v231, v227
	v_pk_add_f32 v[220:221], v[230:231], v[220:221]
	v_pk_mul_f32 v[230:231], v[156:157], s[28:29] op_sel_hi:[1,0]
	v_mov_b32_e32 v217, v219
	v_pk_fma_f32 v[232:233], v[146:147], s[40:41], v[230:231] op_sel:[0,0,1] op_sel_hi:[1,0,0]
	v_pk_fma_f32 v[230:231], v[146:147], s[40:41], v[230:231] op_sel:[0,0,1] op_sel_hi:[1,0,0] neg_lo:[0,0,1] neg_hi:[0,0,1]
	v_mov_b32_e32 v234, v232
	v_mov_b32_e32 v235, v231
	v_pk_add_f32 v[220:221], v[234:235], v[220:221]
	v_pk_mul_f32 v[234:235], v[154:155], s[18:19] op_sel_hi:[1,0]
	v_mov_b32_e32 v1, v169
	v_pk_fma_f32 v[236:237], v[152:153], s[34:35], v[234:235] op_sel:[0,0,1] op_sel_hi:[1,0,0]
	v_pk_fma_f32 v[234:235], v[152:153], s[34:35], v[234:235] op_sel:[0,0,1] op_sel_hi:[1,0,0] neg_lo:[0,0,1] neg_hi:[0,0,1]
	v_mov_b32_e32 v238, v236
	v_mov_b32_e32 v239, v235
	v_pk_add_f32 v[220:221], v[238:239], v[220:221]
	v_pk_mul_f32 v[238:239], v[162:163], s[2:3] op_sel_hi:[1,0]
	v_mov_b32_e32 v223, v225
	v_pk_fma_f32 v[240:241], v[160:161], s[36:37], v[238:239] op_sel:[0,0,1] op_sel_hi:[1,0,0]
	v_pk_fma_f32 v[238:239], v[160:161], s[36:37], v[238:239] op_sel:[0,0,1] op_sel_hi:[1,0,0] neg_lo:[0,0,1] neg_hi:[0,0,1]
	v_mov_b32_e32 v242, v240
	v_mov_b32_e32 v243, v239
	v_pk_add_f32 v[220:221], v[242:243], v[220:221]
	ds_write2_b64 v63, v[190:191], v[220:221] offset0:4 offset1:5
	v_pk_fma_f32 v[190:191], v[158:159], s[40:41], v[6:7] op_sel:[0,0,1] op_sel_hi:[1,0,0]
	v_pk_fma_f32 v[6:7], v[158:159], s[40:41], v[6:7] op_sel:[0,0,1] op_sel_hi:[1,0,0] neg_lo:[0,0,1] neg_hi:[0,0,1]
	v_pk_fma_f32 v[158:159], v[2:3], s[34:35], v[4:5] op_sel:[0,0,1] op_sel_hi:[1,0,0]
	v_pk_fma_f32 v[2:3], v[2:3], s[34:35], v[4:5] op_sel:[0,0,1] op_sel_hi:[1,0,0] neg_lo:[0,0,1] neg_hi:[0,0,1]
	v_mov_b32_e32 v4, v190
	v_mov_b32_e32 v5, v7
	v_pk_add_f32 v[4:5], v[48:49], v[4:5]
	v_mov_b32_e32 v220, v158
	v_mov_b32_e32 v221, v3
	v_pk_add_f32 v[4:5], v[220:221], v[4:5]
	v_pk_fma_f32 v[220:221], v[8:9], s[38:39], v[14:15] op_sel:[0,0,1] op_sel_hi:[1,0,0]
	v_pk_fma_f32 v[8:9], v[8:9], s[38:39], v[14:15] op_sel:[0,0,1] op_sel_hi:[1,0,0] neg_lo:[0,0,1] neg_hi:[0,0,1]
	v_mov_b32_e32 v14, v220
	v_mov_b32_e32 v15, v9
	v_pk_add_f32 v[4:5], v[14:15], v[4:5]
	v_pk_mul_f32 v[14:15], v[156:157], s[24:25] op_sel_hi:[1,0]
	v_mov_b32_e32 v7, v191
	v_pk_fma_f32 v[156:157], v[146:147], s[30:31], v[14:15] op_sel:[0,0,1] op_sel_hi:[1,0,0]
	v_pk_fma_f32 v[14:15], v[146:147], s[30:31], v[14:15] op_sel:[0,0,1] op_sel_hi:[1,0,0] neg_lo:[0,0,1] neg_hi:[0,0,1]
	v_mov_b32_e32 v146, v156
	v_mov_b32_e32 v147, v15
	v_pk_add_f32 v[4:5], v[146:147], v[4:5]
	v_pk_mul_f32 v[146:147], v[154:155], s[2:3] op_sel_hi:[1,0]
	v_mov_b32_e32 v3, v159
	v_pk_fma_f32 v[154:155], v[152:153], s[36:37], v[146:147] op_sel:[0,0,1] op_sel_hi:[1,0,0]
	v_pk_fma_f32 v[146:147], v[152:153], s[36:37], v[146:147] op_sel:[0,0,1] op_sel_hi:[1,0,0] neg_lo:[0,0,1] neg_hi:[0,0,1]
	v_pk_add_f32 v[6:7], v[48:49], v[6:7]
	v_mov_b32_e32 v152, v154
	v_mov_b32_e32 v153, v147
	v_pk_add_f32 v[2:3], v[2:3], v[6:7]
	v_mov_b32_e32 v9, v221
	v_pk_add_f32 v[4:5], v[152:153], v[4:5]
	v_pk_mul_f32 v[152:153], v[162:163], s[16:17] op_sel_hi:[1,0]
	v_pk_add_f32 v[2:3], v[8:9], v[2:3]
	v_mov_b32_e32 v15, v157
	v_pk_fma_f32 v[162:163], v[160:161], s[10:11], v[152:153] op_sel:[0,0,1] op_sel_hi:[1,0,0]
	v_pk_fma_f32 v[152:153], v[160:161], s[10:11], v[152:153] op_sel:[0,0,1] op_sel_hi:[1,0,0] neg_lo:[0,0,1] neg_hi:[0,0,1]
	v_pk_add_f32 v[2:3], v[14:15], v[2:3]
	v_mov_b32_e32 v147, v155
	v_mov_b32_e32 v160, v162
	;; [unrolled: 1-line block ×3, first 2 shown]
	v_pk_add_f32 v[2:3], v[146:147], v[2:3]
	v_mov_b32_e32 v153, v163
	v_pk_add_f32 v[4:5], v[160:161], v[4:5]
	v_pk_add_f32 v[2:3], v[152:153], v[2:3]
	ds_write2_b64 v63, v[4:5], v[2:3] offset0:6 offset1:7
	v_pk_add_f32 v[2:3], v[48:49], v[216:217]
	v_mov_b32_e32 v193, v195
	v_pk_add_f32 v[0:1], v[48:49], v[0:1]
	v_pk_add_f32 v[2:3], v[222:223], v[2:3]
	v_mov_b32_e32 v227, v229
	v_pk_add_f32 v[0:1], v[192:193], v[0:1]
	v_mov_b32_e32 v197, v199
	;; [unrolled: 2-line block ×8, first 2 shown]
	v_pk_add_f32 v[2:3], v[238:239], v[2:3]
	v_pk_add_f32 v[0:1], v[212:213], v[0:1]
	v_mov_b32_e32 v165, v167
	v_mov_b32_e32 v127, v129
	ds_write2_b64 v63, v[2:3], v[0:1] offset0:8 offset1:9
	v_mov_b32_e32 v171, v173
	v_pk_add_f32 v[0:1], v[48:49], v[164:165]
	v_mov_b32_e32 v131, v133
	v_pk_add_f32 v[2:3], v[48:49], v[126:127]
	v_pk_add_f32 v[0:1], v[170:171], v[0:1]
	v_mov_b32_e32 v175, v177
	v_pk_add_f32 v[2:3], v[130:131], v[2:3]
	v_mov_b32_e32 v137, v135
	;; [unrolled: 2-line block ×8, first 2 shown]
	v_pk_add_f32 v[0:1], v[186:187], v[0:1]
	v_pk_add_f32 v[2:3], v[150:151], v[2:3]
	v_mov_b32_e32 v85, v51
	ds_write2_b64 v63, v[0:1], v[2:3] offset0:10 offset1:11
	v_pk_add_f32 v[0:1], v[48:49], v[84:85]
	v_mov_b32_e32 v109, v107
	v_pk_add_f32 v[0:1], v[108:109], v[0:1]
	v_mov_b32_e32 v113, v111
	;; [unrolled: 2-line block ×5, first 2 shown]
	v_pk_add_f32 v[0:1], v[124:125], v[0:1]
	ds_write_b64 v63, v[0:1] offset:96
	s_waitcnt lgkmcnt(0)
	s_barrier
	ds_read_b64 v[0:1], v56 offset:16224
	ds_read2_b64 v[48:51], v244 offset0:26 offset1:195
	ds_read2_b64 v[106:109], v31 offset0:72 offset1:241
	s_waitcnt lgkmcnt(2)
	v_pk_mul_f32 v[2:3], v[94:95], v[0:1] op_sel_hi:[0,1]
	v_pk_fma_f32 v[4:5], v[22:23], v[0:1], v[2:3] op_sel:[0,0,1] op_sel_hi:[1,1,0]
	v_pk_fma_f32 v[6:7], v[22:23], v[0:1], v[2:3] op_sel:[0,0,1] op_sel_hi:[0,1,0] neg_lo:[0,0,1] neg_hi:[0,0,1]
	s_waitcnt lgkmcnt(1)
	v_pk_mul_f32 v[0:1], v[20:21], v[50:51] op_sel:[1,0]
	v_mov_b32_e32 v6, v13
	v_pk_fma_f32 v[8:9], v[20:21], v[50:51], v[0:1] op_sel:[0,0,1] op_sel_hi:[1,1,0]
	v_pk_fma_f32 v[22:23], v[20:21], v[50:51], v[0:1] op_sel:[0,0,1] op_sel_hi:[0,1,0] neg_lo:[0,0,1] neg_hi:[0,0,1]
	v_pk_mul_f32 v[0:1], v[92:93], v[48:49] op_sel_hi:[0,1]
	v_pk_fma_f32 v[50:51], v[18:19], v[48:49], v[0:1] op_sel:[0,0,1] op_sel_hi:[1,1,0]
	v_pk_fma_f32 v[48:49], v[18:19], v[48:49], v[0:1] op_sel:[0,0,1] op_sel_hi:[0,1,0] neg_lo:[0,0,1] neg_hi:[0,0,1]
	ds_read2_b64 v[18:21], v27 offset0:54 offset1:223
	s_waitcnt lgkmcnt(1)
	v_pk_mul_f32 v[0:1], v[16:17], v[108:109] op_sel:[1,0]
	v_mov_b32_e32 v51, v49
	v_pk_fma_f32 v[84:85], v[16:17], v[108:109], v[0:1] op_sel:[0,0,1] op_sel_hi:[1,1,0]
	v_pk_fma_f32 v[92:93], v[16:17], v[108:109], v[0:1] op_sel:[0,0,1] op_sel_hi:[0,1,0] neg_lo:[0,0,1] neg_hi:[0,0,1]
	v_pk_mul_f32 v[0:1], v[90:91], v[106:107] op_sel_hi:[0,1]
	v_pk_fma_f32 v[90:91], v[54:55], v[106:107], v[0:1] op_sel:[0,0,1] op_sel_hi:[1,1,0]
	v_pk_fma_f32 v[54:55], v[54:55], v[106:107], v[0:1] op_sel:[0,0,1] op_sel_hi:[0,1,0] neg_lo:[0,0,1] neg_hi:[0,0,1]
	s_waitcnt lgkmcnt(0)
	v_pk_mul_f32 v[0:1], v[52:53], v[20:21] op_sel:[1,0]
	ds_read2_b64 v[14:17], v247 offset0:36 offset1:205
	v_pk_fma_f32 v[106:107], v[52:53], v[20:21], v[0:1] op_sel:[0,0,1] op_sel_hi:[1,1,0]
	v_pk_fma_f32 v[52:53], v[52:53], v[20:21], v[0:1] op_sel:[0,0,1] op_sel_hi:[0,1,0] neg_lo:[0,0,1] neg_hi:[0,0,1]
	v_mov_b32_e32 v0, v205
	v_pk_mul_f32 v[0:1], v[0:1], v[18:19] op_sel_hi:[0,1]
	v_pk_fma_f32 v[108:109], v[204:205], v[18:19], v[0:1] op_sel:[0,0,1] op_sel_hi:[1,1,0]
	v_pk_fma_f32 v[110:111], v[204:205], v[18:19], v[0:1] op_sel:[0,0,1] op_sel_hi:[0,1,0] neg_lo:[0,0,1] neg_hi:[0,0,1]
	ds_read2_b64 v[18:21], v62 offset0:82 offset1:251
	s_waitcnt lgkmcnt(1)
	v_pk_mul_f32 v[0:1], v[202:203], v[16:17] op_sel:[1,0]
	v_mov_b32_e32 v109, v111
	v_pk_fma_f32 v[112:113], v[202:203], v[16:17], v[0:1] op_sel:[0,0,1] op_sel_hi:[1,1,0]
	v_pk_fma_f32 v[16:17], v[202:203], v[16:17], v[0:1] op_sel:[0,0,1] op_sel_hi:[0,1,0] neg_lo:[0,0,1] neg_hi:[0,0,1]
	v_mov_b32_e32 v0, v89
	v_pk_mul_f32 v[0:1], v[0:1], v[14:15] op_sel_hi:[0,1]
	v_pk_fma_f32 v[114:115], v[88:89], v[14:15], v[0:1] op_sel:[0,0,1] op_sel_hi:[1,1,0]
	v_pk_fma_f32 v[14:15], v[88:89], v[14:15], v[0:1] op_sel:[0,0,1] op_sel_hi:[0,1,0] neg_lo:[0,0,1] neg_hi:[0,0,1]
	s_waitcnt lgkmcnt(0)
	v_pk_mul_f32 v[0:1], v[86:87], v[20:21] op_sel:[1,0]
	v_mov_b32_e32 v115, v15
	v_pk_fma_f32 v[88:89], v[86:87], v[20:21], v[0:1] op_sel:[0,0,1] op_sel_hi:[1,1,0]
	v_pk_fma_f32 v[20:21], v[86:87], v[20:21], v[0:1] op_sel:[0,0,1] op_sel_hi:[0,1,0] neg_lo:[0,0,1] neg_hi:[0,0,1]
	ds_read2_b64 v[0:3], v56 offset1:169
	v_pk_mul_f32 v[86:87], v[6:7], v[18:19] op_sel_hi:[0,1]
	v_pk_fma_f32 v[116:117], v[12:13], v[18:19], v[86:87] op_sel:[0,0,1] op_sel_hi:[1,1,0]
	v_pk_fma_f32 v[12:13], v[12:13], v[18:19], v[86:87] op_sel:[0,0,1] op_sel_hi:[0,1,0] neg_lo:[0,0,1] neg_hi:[0,0,1]
	v_mov_b32_e32 v117, v13
	s_waitcnt lgkmcnt(0)
	v_pk_mul_f32 v[18:19], v[10:11], v[2:3] op_sel:[1,0]
	v_mov_b32_e32 v89, v21
	v_pk_fma_f32 v[86:87], v[10:11], v[2:3], v[18:19] op_sel:[0,0,1] op_sel_hi:[1,1,0]
	v_pk_fma_f32 v[2:3], v[10:11], v[2:3], v[18:19] op_sel:[0,0,1] op_sel_hi:[0,1,0] neg_lo:[0,0,1] neg_hi:[0,0,1]
	v_mov_b32_e32 v87, v3
	v_pk_add_f32 v[2:3], v[0:1], v[86:87]
	v_mov_b32_e32 v113, v17
	v_pk_add_f32 v[2:3], v[2:3], v[116:117]
	;; [unrolled: 2-line block ×7, first 2 shown]
	v_pk_add_f32 v[110:111], v[86:87], v[4:5] neg_lo:[0,1] neg_hi:[0,1]
	v_pk_add_f32 v[2:3], v[2:3], v[90:91]
	v_pk_add_f32 v[54:55], v[86:87], v[4:5]
	;; [unrolled: 1-line block ×5, first 2 shown]
	v_pk_add_f32 v[116:117], v[116:117], v[8:9] neg_lo:[0,1] neg_hi:[0,1]
	v_pk_add_f32 v[2:3], v[2:3], v[8:9]
	v_pk_mul_f32 v[8:9], v[116:117], s[6:7] op_sel_hi:[1,0]
	v_pk_add_f32 v[52:53], v[2:3], v[4:5]
	v_pk_mul_f32 v[4:5], v[110:111], s[20:21] op_sel_hi:[1,0]
	v_pk_add_f32 v[122:123], v[88:89], v[50:51] neg_lo:[0,1] neg_hi:[0,1]
	v_pk_fma_f32 v[2:3], v[54:55], s[34:35], v[4:5] op_sel:[0,0,1] op_sel_hi:[1,0,0]
	v_pk_fma_f32 v[4:5], v[54:55], s[34:35], v[4:5] op_sel:[0,0,1] op_sel_hi:[1,0,0] neg_lo:[0,0,1] neg_hi:[0,0,1]
	v_mov_b32_e32 v6, v2
	v_mov_b32_e32 v7, v5
	v_pk_add_f32 v[10:11], v[0:1], v[6:7]
	v_pk_fma_f32 v[6:7], v[118:119], s[30:31], v[8:9] op_sel:[0,0,1] op_sel_hi:[1,0,0]
	v_pk_fma_f32 v[8:9], v[118:119], s[30:31], v[8:9] op_sel:[0,0,1] op_sel_hi:[1,0,0] neg_lo:[0,0,1] neg_hi:[0,0,1]
	v_mov_b32_e32 v12, v6
	v_mov_b32_e32 v13, v9
	v_pk_add_f32 v[14:15], v[12:13], v[10:11]
	v_pk_add_f32 v[120:121], v[88:89], v[50:51]
	v_pk_mul_f32 v[12:13], v[122:123], s[14:15] op_sel_hi:[1,0]
	v_pk_add_f32 v[124:125], v[114:115], v[84:85]
	v_pk_fma_f32 v[10:11], v[120:121], s[10:11], v[12:13] op_sel:[0,0,1] op_sel_hi:[1,0,0]
	v_pk_fma_f32 v[12:13], v[120:121], s[10:11], v[12:13] op_sel:[0,0,1] op_sel_hi:[1,0,0] neg_lo:[0,0,1] neg_hi:[0,0,1]
	v_mov_b32_e32 v16, v10
	v_mov_b32_e32 v17, v13
	v_pk_add_f32 v[114:115], v[114:115], v[84:85] neg_lo:[0,1] neg_hi:[0,1]
	v_pk_add_f32 v[18:19], v[16:17], v[14:15]
	v_pk_mul_f32 v[16:17], v[114:115], s[2:3] op_sel_hi:[1,0]
	v_pk_add_f32 v[126:127], v[112:113], v[90:91]
	v_pk_fma_f32 v[14:15], v[124:125], s[36:37], v[16:17] op_sel:[0,0,1] op_sel_hi:[1,0,0]
	v_pk_fma_f32 v[16:17], v[124:125], s[36:37], v[16:17] op_sel:[0,0,1] op_sel_hi:[1,0,0] neg_lo:[0,0,1] neg_hi:[0,0,1]
	v_mov_b32_e32 v20, v14
	v_mov_b32_e32 v21, v17
	v_pk_add_f32 v[112:113], v[112:113], v[90:91] neg_lo:[0,1] neg_hi:[0,1]
	;; [unrolled: 8-line block ×3, first 2 shown]
	v_pk_add_f32 v[50:51], v[48:49], v[22:23]
	v_pk_mul_f32 v[48:49], v[106:107], s[12:13] op_sel_hi:[1,0]
	s_nop 0
	v_pk_fma_f32 v[22:23], v[128:129], s[40:41], v[48:49] op_sel:[0,0,1] op_sel_hi:[1,0,0]
	v_pk_fma_f32 v[48:49], v[128:129], s[40:41], v[48:49] op_sel:[0,0,1] op_sel_hi:[1,0,0] neg_lo:[0,0,1] neg_hi:[0,0,1]
	v_mov_b32_e32 v84, v22
	v_mov_b32_e32 v85, v49
	v_pk_add_f32 v[50:51], v[84:85], v[50:51]
	s_barrier
	ds_write2_b64 v95, v[52:53], v[50:51] offset1:13
	v_pk_mul_f32 v[50:51], v[110:111], s[6:7] op_sel_hi:[1,0]
	v_pk_mul_f32 v[86:87], v[116:117], s[2:3] op_sel_hi:[1,0]
	v_pk_fma_f32 v[84:85], v[54:55], s[30:31], v[50:51] op_sel:[0,0,1] op_sel_hi:[1,0,0]
	v_pk_fma_f32 v[50:51], v[54:55], s[30:31], v[50:51] op_sel:[0,0,1] op_sel_hi:[1,0,0] neg_lo:[0,0,1] neg_hi:[0,0,1]
	v_mov_b32_e32 v52, v84
	v_mov_b32_e32 v53, v51
	v_pk_fma_f32 v[88:89], v[118:119], s[36:37], v[86:87] op_sel:[0,0,1] op_sel_hi:[1,0,0]
	v_pk_fma_f32 v[86:87], v[118:119], s[36:37], v[86:87] op_sel:[0,0,1] op_sel_hi:[1,0,0] neg_lo:[0,0,1] neg_hi:[0,0,1]
	v_pk_add_f32 v[52:53], v[0:1], v[52:53]
	v_mov_b32_e32 v90, v88
	v_mov_b32_e32 v91, v87
	v_pk_mul_f32 v[92:93], v[122:123], s[12:13] op_sel_hi:[1,0]
	v_pk_add_f32 v[52:53], v[90:91], v[52:53]
	v_pk_fma_f32 v[90:91], v[120:121], s[40:41], v[92:93] op_sel:[0,0,1] op_sel_hi:[1,0,0]
	v_pk_fma_f32 v[92:93], v[120:121], s[40:41], v[92:93] op_sel:[0,0,1] op_sel_hi:[1,0,0] neg_lo:[0,0,1] neg_hi:[0,0,1]
	v_mov_b32_e32 v108, v90
	v_mov_b32_e32 v109, v93
	v_pk_add_f32 v[52:53], v[108:109], v[52:53]
	v_pk_mul_f32 v[108:109], v[114:115], s[22:23] op_sel_hi:[1,0]
	v_pk_mul_f32 v[146:147], v[116:117], s[12:13] op_sel_hi:[1,0]
	v_pk_fma_f32 v[130:131], v[124:125], s[38:39], v[108:109] op_sel:[0,0,1] op_sel_hi:[1,0,0]
	v_pk_fma_f32 v[108:109], v[124:125], s[38:39], v[108:109] op_sel:[0,0,1] op_sel_hi:[1,0,0] neg_lo:[0,0,1] neg_hi:[0,0,1]
	v_mov_b32_e32 v132, v130
	v_mov_b32_e32 v133, v109
	v_pk_add_f32 v[52:53], v[132:133], v[52:53]
	v_pk_mul_f32 v[132:133], v[112:113], s[16:17] op_sel_hi:[1,0]
	v_pk_fma_f32 v[148:149], v[118:119], s[40:41], v[146:147] op_sel:[0,0,1] op_sel_hi:[1,0,0]
	v_pk_fma_f32 v[134:135], v[126:127], s[10:11], v[132:133] op_sel:[0,0,1] op_sel_hi:[1,0,0]
	v_pk_fma_f32 v[132:133], v[126:127], s[10:11], v[132:133] op_sel:[0,0,1] op_sel_hi:[1,0,0] neg_lo:[0,0,1] neg_hi:[0,0,1]
	v_mov_b32_e32 v136, v134
	v_mov_b32_e32 v137, v133
	v_pk_add_f32 v[52:53], v[136:137], v[52:53]
	v_pk_mul_f32 v[136:137], v[106:107], s[18:19] op_sel_hi:[1,0]
	v_pk_fma_f32 v[146:147], v[118:119], s[40:41], v[146:147] op_sel:[0,0,1] op_sel_hi:[1,0,0] neg_lo:[0,0,1] neg_hi:[0,0,1]
	v_pk_fma_f32 v[138:139], v[128:129], s[34:35], v[136:137] op_sel:[0,0,1] op_sel_hi:[1,0,0]
	v_pk_fma_f32 v[136:137], v[128:129], s[34:35], v[136:137] op_sel:[0,0,1] op_sel_hi:[1,0,0] neg_lo:[0,0,1] neg_hi:[0,0,1]
	v_mov_b32_e32 v140, v138
	v_mov_b32_e32 v141, v137
	v_pk_add_f32 v[52:53], v[140:141], v[52:53]
	v_pk_mul_f32 v[140:141], v[110:111], s[14:15] op_sel_hi:[1,0]
	v_mov_b32_e32 v150, v148
	v_pk_fma_f32 v[142:143], v[54:55], s[10:11], v[140:141] op_sel:[0,0,1] op_sel_hi:[1,0,0]
	v_pk_fma_f32 v[140:141], v[54:55], s[10:11], v[140:141] op_sel:[0,0,1] op_sel_hi:[1,0,0] neg_lo:[0,0,1] neg_hi:[0,0,1]
	v_mov_b32_e32 v144, v142
	v_mov_b32_e32 v145, v141
	v_pk_add_f32 v[144:145], v[0:1], v[144:145]
	v_mov_b32_e32 v151, v147
	v_pk_add_f32 v[144:145], v[150:151], v[144:145]
	v_pk_mul_f32 v[150:151], v[122:123], s[26:27] op_sel_hi:[1,0]
	v_pk_mul_f32 v[168:169], v[116:117], s[22:23] op_sel_hi:[1,0]
	v_pk_fma_f32 v[152:153], v[120:121], s[36:37], v[150:151] op_sel:[0,0,1] op_sel_hi:[1,0,0]
	v_pk_fma_f32 v[150:151], v[120:121], s[36:37], v[150:151] op_sel:[0,0,1] op_sel_hi:[1,0,0] neg_lo:[0,0,1] neg_hi:[0,0,1]
	v_mov_b32_e32 v154, v152
	v_mov_b32_e32 v155, v151
	v_pk_add_f32 v[144:145], v[154:155], v[144:145]
	v_pk_mul_f32 v[154:155], v[114:115], s[18:19] op_sel_hi:[1,0]
	v_pk_fma_f32 v[170:171], v[118:119], s[38:39], v[168:169] op_sel:[0,0,1] op_sel_hi:[1,0,0]
	v_pk_fma_f32 v[156:157], v[124:125], s[34:35], v[154:155] op_sel:[0,0,1] op_sel_hi:[1,0,0]
	v_pk_fma_f32 v[154:155], v[124:125], s[34:35], v[154:155] op_sel:[0,0,1] op_sel_hi:[1,0,0] neg_lo:[0,0,1] neg_hi:[0,0,1]
	v_mov_b32_e32 v158, v156
	v_mov_b32_e32 v159, v155
	v_pk_add_f32 v[144:145], v[158:159], v[144:145]
	v_pk_mul_f32 v[158:159], v[112:113], s[6:7] op_sel_hi:[1,0]
	v_pk_fma_f32 v[168:169], v[118:119], s[38:39], v[168:169] op_sel:[0,0,1] op_sel_hi:[1,0,0] neg_lo:[0,0,1] neg_hi:[0,0,1]
	v_pk_fma_f32 v[160:161], v[126:127], s[30:31], v[158:159] op_sel:[0,0,1] op_sel_hi:[1,0,0]
	v_pk_fma_f32 v[158:159], v[126:127], s[30:31], v[158:159] op_sel:[0,0,1] op_sel_hi:[1,0,0] neg_lo:[0,0,1] neg_hi:[0,0,1]
	v_mov_b32_e32 v162, v160
	v_mov_b32_e32 v163, v159
	v_pk_add_f32 v[144:145], v[162:163], v[144:145]
	v_pk_mul_f32 v[162:163], v[106:107], s[8:9] op_sel_hi:[1,0]
	v_mov_b32_e32 v172, v170
	v_pk_fma_f32 v[164:165], v[128:129], s[38:39], v[162:163] op_sel:[0,0,1] op_sel_hi:[1,0,0]
	v_pk_fma_f32 v[162:163], v[128:129], s[38:39], v[162:163] op_sel:[0,0,1] op_sel_hi:[1,0,0] neg_lo:[0,0,1] neg_hi:[0,0,1]
	v_mov_b32_e32 v166, v164
	v_mov_b32_e32 v167, v163
	v_pk_add_f32 v[144:145], v[166:167], v[144:145]
	ds_write2_b64 v95, v[52:53], v[144:145] offset0:26 offset1:39
	v_pk_mul_f32 v[52:53], v[110:111], s[2:3] op_sel_hi:[1,0]
	v_mov_b32_e32 v173, v169
	v_pk_fma_f32 v[144:145], v[54:55], s[36:37], v[52:53] op_sel:[0,0,1] op_sel_hi:[1,0,0]
	v_pk_fma_f32 v[52:53], v[54:55], s[36:37], v[52:53] op_sel:[0,0,1] op_sel_hi:[1,0,0] neg_lo:[0,0,1] neg_hi:[0,0,1]
	v_mov_b32_e32 v166, v144
	v_mov_b32_e32 v167, v53
	v_pk_add_f32 v[166:167], v[0:1], v[166:167]
	v_pk_mul_f32 v[194:195], v[116:117], s[16:17] op_sel_hi:[1,0]
	v_pk_add_f32 v[166:167], v[172:173], v[166:167]
	v_pk_mul_f32 v[172:173], v[122:123], s[18:19] op_sel_hi:[1,0]
	v_pk_fma_f32 v[196:197], v[118:119], s[10:11], v[194:195] op_sel:[0,0,1] op_sel_hi:[1,0,0]
	v_pk_fma_f32 v[174:175], v[120:121], s[34:35], v[172:173] op_sel:[0,0,1] op_sel_hi:[1,0,0]
	v_pk_fma_f32 v[172:173], v[120:121], s[34:35], v[172:173] op_sel:[0,0,1] op_sel_hi:[1,0,0] neg_lo:[0,0,1] neg_hi:[0,0,1]
	v_mov_b32_e32 v176, v174
	v_mov_b32_e32 v177, v173
	v_pk_add_f32 v[166:167], v[176:177], v[166:167]
	v_pk_mul_f32 v[176:177], v[114:115], s[14:15] op_sel_hi:[1,0]
	v_pk_fma_f32 v[194:195], v[118:119], s[10:11], v[194:195] op_sel:[0,0,1] op_sel_hi:[1,0,0] neg_lo:[0,0,1] neg_hi:[0,0,1]
	v_pk_fma_f32 v[178:179], v[124:125], s[10:11], v[176:177] op_sel:[0,0,1] op_sel_hi:[1,0,0]
	v_pk_fma_f32 v[176:177], v[124:125], s[10:11], v[176:177] op_sel:[0,0,1] op_sel_hi:[1,0,0] neg_lo:[0,0,1] neg_hi:[0,0,1]
	v_mov_b32_e32 v180, v178
	v_mov_b32_e32 v181, v177
	v_pk_add_f32 v[166:167], v[180:181], v[166:167]
	v_pk_mul_f32 v[180:181], v[112:113], s[28:29] op_sel_hi:[1,0]
	v_mov_b32_e32 v198, v196
	v_pk_fma_f32 v[182:183], v[126:127], s[40:41], v[180:181] op_sel:[0,0,1] op_sel_hi:[1,0,0]
	v_pk_fma_f32 v[180:181], v[126:127], s[40:41], v[180:181] op_sel:[0,0,1] op_sel_hi:[1,0,0] neg_lo:[0,0,1] neg_hi:[0,0,1]
	v_mov_b32_e32 v184, v182
	v_mov_b32_e32 v185, v181
	v_pk_add_f32 v[166:167], v[184:185], v[166:167]
	v_pk_mul_f32 v[184:185], v[106:107], s[24:25] op_sel_hi:[1,0]
	v_mov_b32_e32 v199, v195
	v_pk_fma_f32 v[186:187], v[128:129], s[30:31], v[184:185] op_sel:[0,0,1] op_sel_hi:[1,0,0]
	v_pk_fma_f32 v[184:185], v[128:129], s[30:31], v[184:185] op_sel:[0,0,1] op_sel_hi:[1,0,0] neg_lo:[0,0,1] neg_hi:[0,0,1]
	v_mov_b32_e32 v188, v186
	v_mov_b32_e32 v189, v185
	v_pk_add_f32 v[166:167], v[188:189], v[166:167]
	v_pk_mul_f32 v[188:189], v[110:111], s[8:9] op_sel_hi:[1,0]
	v_pk_mul_f32 v[110:111], v[110:111], s[12:13] op_sel_hi:[1,0]
	v_pk_fma_f32 v[190:191], v[54:55], s[38:39], v[188:189] op_sel:[0,0,1] op_sel_hi:[1,0,0]
	v_pk_fma_f32 v[188:189], v[54:55], s[38:39], v[188:189] op_sel:[0,0,1] op_sel_hi:[1,0,0] neg_lo:[0,0,1] neg_hi:[0,0,1]
	v_mov_b32_e32 v192, v190
	v_mov_b32_e32 v193, v189
	v_pk_add_f32 v[192:193], v[0:1], v[192:193]
	v_mov_b32_e32 v189, v191
	v_pk_add_f32 v[192:193], v[198:199], v[192:193]
	v_pk_mul_f32 v[198:199], v[122:123], s[6:7] op_sel_hi:[1,0]
	v_pk_mul_f32 v[122:123], v[122:123], s[8:9] op_sel_hi:[1,0]
	v_pk_fma_f32 v[200:201], v[120:121], s[30:31], v[198:199] op_sel:[0,0,1] op_sel_hi:[1,0,0]
	v_pk_fma_f32 v[198:199], v[120:121], s[30:31], v[198:199] op_sel:[0,0,1] op_sel_hi:[1,0,0] neg_lo:[0,0,1] neg_hi:[0,0,1]
	v_mov_b32_e32 v202, v200
	v_mov_b32_e32 v203, v199
	v_pk_add_f32 v[192:193], v[202:203], v[192:193]
	v_pk_mul_f32 v[202:203], v[114:115], s[28:29] op_sel_hi:[1,0]
	v_pk_mul_f32 v[114:115], v[114:115], s[24:25] op_sel_hi:[1,0]
	v_pk_fma_f32 v[204:205], v[124:125], s[40:41], v[202:203] op_sel:[0,0,1] op_sel_hi:[1,0,0]
	v_pk_fma_f32 v[202:203], v[124:125], s[40:41], v[202:203] op_sel:[0,0,1] op_sel_hi:[1,0,0] neg_lo:[0,0,1] neg_hi:[0,0,1]
	v_mov_b32_e32 v206, v204
	;; [unrolled: 7-line block ×4, first 2 shown]
	v_mov_b32_e32 v215, v211
	v_pk_add_f32 v[192:193], v[214:215], v[192:193]
	ds_write2_b64 v95, v[166:167], v[192:193] offset0:52 offset1:65
	v_pk_fma_f32 v[166:167], v[54:55], s[40:41], v[110:111] op_sel:[0,0,1] op_sel_hi:[1,0,0]
	v_pk_fma_f32 v[54:55], v[54:55], s[40:41], v[110:111] op_sel:[0,0,1] op_sel_hi:[1,0,0] neg_lo:[0,0,1] neg_hi:[0,0,1]
	v_pk_mul_f32 v[110:111], v[116:117], s[18:19] op_sel_hi:[1,0]
	v_mov_b32_e32 v53, v145
	v_pk_fma_f32 v[116:117], v[118:119], s[34:35], v[110:111] op_sel:[0,0,1] op_sel_hi:[1,0,0]
	v_pk_fma_f32 v[110:111], v[118:119], s[34:35], v[110:111] op_sel:[0,0,1] op_sel_hi:[1,0,0] neg_lo:[0,0,1] neg_hi:[0,0,1]
	v_mov_b32_e32 v118, v166
	v_mov_b32_e32 v119, v55
	v_pk_add_f32 v[118:119], v[0:1], v[118:119]
	v_mov_b32_e32 v192, v116
	v_mov_b32_e32 v193, v111
	v_pk_add_f32 v[118:119], v[192:193], v[118:119]
	v_pk_fma_f32 v[192:193], v[120:121], s[38:39], v[122:123] op_sel:[0,0,1] op_sel_hi:[1,0,0]
	v_pk_fma_f32 v[120:121], v[120:121], s[38:39], v[122:123] op_sel:[0,0,1] op_sel_hi:[1,0,0] neg_lo:[0,0,1] neg_hi:[0,0,1]
	v_mov_b32_e32 v122, v192
	v_mov_b32_e32 v123, v121
	v_pk_add_f32 v[118:119], v[122:123], v[118:119]
	v_pk_fma_f32 v[122:123], v[124:125], s[30:31], v[114:115] op_sel:[0,0,1] op_sel_hi:[1,0,0]
	v_pk_fma_f32 v[114:115], v[124:125], s[30:31], v[114:115] op_sel:[0,0,1] op_sel_hi:[1,0,0] neg_lo:[0,0,1] neg_hi:[0,0,1]
	v_mov_b32_e32 v55, v167
	v_mov_b32_e32 v124, v122
	;; [unrolled: 1-line block ×4, first 2 shown]
	v_pk_add_f32 v[54:55], v[0:1], v[54:55]
	v_pk_add_f32 v[118:119], v[124:125], v[118:119]
	v_pk_fma_f32 v[124:125], v[126:127], s[36:37], v[112:113] op_sel:[0,0,1] op_sel_hi:[1,0,0]
	v_pk_fma_f32 v[112:113], v[126:127], s[36:37], v[112:113] op_sel:[0,0,1] op_sel_hi:[1,0,0] neg_lo:[0,0,1] neg_hi:[0,0,1]
	v_pk_add_f32 v[54:55], v[110:111], v[54:55]
	v_mov_b32_e32 v121, v193
	v_mov_b32_e32 v126, v124
	;; [unrolled: 1-line block ×3, first 2 shown]
	v_pk_add_f32 v[54:55], v[120:121], v[54:55]
	v_mov_b32_e32 v115, v123
	v_pk_add_f32 v[118:119], v[126:127], v[118:119]
	v_pk_fma_f32 v[126:127], v[128:129], s[10:11], v[106:107] op_sel:[0,0,1] op_sel_hi:[1,0,0]
	v_pk_fma_f32 v[106:107], v[128:129], s[10:11], v[106:107] op_sel:[0,0,1] op_sel_hi:[1,0,0] neg_lo:[0,0,1] neg_hi:[0,0,1]
	v_pk_add_f32 v[54:55], v[114:115], v[54:55]
	v_mov_b32_e32 v113, v125
	v_mov_b32_e32 v128, v126
	;; [unrolled: 1-line block ×3, first 2 shown]
	v_pk_add_f32 v[54:55], v[112:113], v[54:55]
	v_mov_b32_e32 v107, v127
	v_pk_add_f32 v[118:119], v[128:129], v[118:119]
	v_pk_add_f32 v[54:55], v[106:107], v[54:55]
	ds_write2_b64 v95, v[118:119], v[54:55] offset0:78 offset1:91
	v_mov_b32_e32 v195, v197
	v_pk_add_f32 v[54:55], v[0:1], v[188:189]
	v_mov_b32_e32 v169, v171
	v_pk_add_f32 v[52:53], v[0:1], v[52:53]
	v_pk_add_f32 v[54:55], v[194:195], v[54:55]
	v_mov_b32_e32 v199, v201
	v_pk_add_f32 v[52:53], v[168:169], v[52:53]
	v_mov_b32_e32 v173, v175
	;; [unrolled: 2-line block ×8, first 2 shown]
	v_pk_add_f32 v[54:55], v[210:211], v[54:55]
	v_pk_add_f32 v[52:53], v[184:185], v[52:53]
	v_mov_b32_e32 v141, v143
	v_mov_b32_e32 v51, v85
	;; [unrolled: 1-line block ×3, first 2 shown]
	ds_write2_b64 v95, v[54:55], v[52:53] offset0:104 offset1:117
	v_mov_b32_e32 v147, v149
	v_pk_add_f32 v[52:53], v[0:1], v[140:141]
	v_mov_b32_e32 v87, v89
	v_pk_add_f32 v[50:51], v[0:1], v[50:51]
	v_pk_add_f32 v[0:1], v[0:1], v[4:5]
	v_mov_b32_e32 v9, v7
	v_pk_add_f32 v[52:53], v[146:147], v[52:53]
	v_mov_b32_e32 v151, v153
	;; [unrolled: 2-line block ×13, first 2 shown]
	v_pk_add_f32 v[52:53], v[162:163], v[52:53]
	v_pk_add_f32 v[50:51], v[136:137], v[50:51]
	;; [unrolled: 1-line block ×3, first 2 shown]
	ds_write2_b64 v95, v[52:53], v[50:51] offset0:130 offset1:143
	ds_write_b64 v95, v[0:1] offset:1248
	s_waitcnt lgkmcnt(0)
	s_barrier
	ds_read_b64 v[4:5], v56 offset:16224
	ds_read2_b64 v[0:3], v244 offset0:26 offset1:195
	s_waitcnt lgkmcnt(1)
	v_pk_mul_f32 v[6:7], v[104:105], v[4:5] op_sel_hi:[0,1]
	v_pk_fma_f32 v[12:13], v[46:47], v[4:5], v[6:7] op_sel:[0,0,1] op_sel_hi:[1,1,0]
	v_pk_fma_f32 v[14:15], v[46:47], v[4:5], v[6:7] op_sel:[0,0,1] op_sel_hi:[0,1,0] neg_lo:[0,0,1] neg_hi:[0,0,1]
	ds_read2_b64 v[4:7], v31 offset0:72 offset1:241
	s_waitcnt lgkmcnt(1)
	v_pk_mul_f32 v[8:9], v[44:45], v[2:3] op_sel:[1,0]
	v_mov_b32_e32 v13, v15
	v_pk_fma_f32 v[16:17], v[44:45], v[2:3], v[8:9] op_sel:[0,0,1] op_sel_hi:[1,1,0]
	v_pk_fma_f32 v[18:19], v[44:45], v[2:3], v[8:9] op_sel:[0,0,1] op_sel_hi:[0,1,0] neg_lo:[0,0,1] neg_hi:[0,0,1]
	v_pk_mul_f32 v[2:3], v[102:103], v[0:1] op_sel_hi:[0,1]
	v_pk_fma_f32 v[20:21], v[42:43], v[0:1], v[2:3] op_sel:[0,0,1] op_sel_hi:[1,1,0]
	v_pk_fma_f32 v[22:23], v[42:43], v[0:1], v[2:3] op_sel:[0,0,1] op_sel_hi:[0,1,0] neg_lo:[0,0,1] neg_hi:[0,0,1]
	ds_read2_b64 v[0:3], v27 offset0:54 offset1:223
	s_waitcnt lgkmcnt(1)
	v_pk_mul_f32 v[8:9], v[40:41], v[6:7] op_sel:[1,0]
	v_mov_b32_e32 v21, v23
	v_pk_fma_f32 v[42:43], v[40:41], v[6:7], v[8:9] op_sel:[0,0,1] op_sel_hi:[1,1,0]
	v_pk_fma_f32 v[40:41], v[40:41], v[6:7], v[8:9] op_sel:[0,0,1] op_sel_hi:[0,1,0] neg_lo:[0,0,1] neg_hi:[0,0,1]
	;; [unrolled: 9-line block ×3, first 2 shown]
	ds_read2_b64 v[8:11], v62 offset0:82 offset1:251
	v_pk_mul_f32 v[2:3], v[98:99], v[0:1] op_sel_hi:[0,1]
	v_pk_fma_f32 v[48:49], v[30:31], v[0:1], v[2:3] op_sel:[0,0,1] op_sel_hi:[1,1,0]
	v_pk_fma_f32 v[30:31], v[30:31], v[0:1], v[2:3] op_sel:[0,0,1] op_sel_hi:[0,1,0] neg_lo:[0,0,1] neg_hi:[0,0,1]
	s_waitcnt lgkmcnt(1)
	v_pk_mul_f32 v[0:1], v[28:29], v[6:7] op_sel:[1,0]
	v_mov_b32_e32 v49, v31
	v_pk_fma_f32 v[50:51], v[28:29], v[6:7], v[0:1] op_sel:[0,0,1] op_sel_hi:[1,1,0]
	v_pk_fma_f32 v[6:7], v[28:29], v[6:7], v[0:1] op_sel:[0,0,1] op_sel_hi:[0,1,0] neg_lo:[0,0,1] neg_hi:[0,0,1]
	v_pk_mul_f32 v[0:1], v[96:97], v[4:5] op_sel_hi:[0,1]
	v_pk_fma_f32 v[28:29], v[26:27], v[4:5], v[0:1] op_sel:[0,0,1] op_sel_hi:[1,1,0]
	v_pk_fma_f32 v[4:5], v[26:27], v[4:5], v[0:1] op_sel:[0,0,1] op_sel_hi:[0,1,0] neg_lo:[0,0,1] neg_hi:[0,0,1]
	s_waitcnt lgkmcnt(0)
	v_pk_mul_f32 v[0:1], v[24:25], v[10:11] op_sel:[1,0]
	v_mov_b32_e32 v4, v35
	v_pk_fma_f32 v[26:27], v[24:25], v[10:11], v[0:1] op_sel:[0,0,1] op_sel_hi:[1,1,0]
	v_pk_fma_f32 v[10:11], v[24:25], v[10:11], v[0:1] op_sel:[0,0,1] op_sel_hi:[0,1,0] neg_lo:[0,0,1] neg_hi:[0,0,1]
	ds_read2_b64 v[0:3], v56 offset1:169
	v_pk_mul_f32 v[24:25], v[4:5], v[8:9] op_sel_hi:[0,1]
	v_pk_fma_f32 v[52:53], v[34:35], v[8:9], v[24:25] op_sel:[0,0,1] op_sel_hi:[1,1,0]
	v_pk_fma_f32 v[8:9], v[34:35], v[8:9], v[24:25] op_sel:[0,0,1] op_sel_hi:[0,1,0] neg_lo:[0,0,1] neg_hi:[0,0,1]
	v_mov_b32_e32 v53, v9
	s_waitcnt lgkmcnt(0)
	v_pk_mul_f32 v[24:25], v[32:33], v[2:3] op_sel:[1,0]
	v_mov_b32_e32 v27, v11
	v_pk_fma_f32 v[34:35], v[32:33], v[2:3], v[24:25] op_sel:[0,0,1] op_sel_hi:[1,1,0]
	v_pk_fma_f32 v[2:3], v[32:33], v[2:3], v[24:25] op_sel:[0,0,1] op_sel_hi:[0,1,0] neg_lo:[0,0,1] neg_hi:[0,0,1]
	v_mov_b32_e32 v35, v3
	v_pk_add_f32 v[2:3], v[0:1], v[34:35]
	v_mov_b32_e32 v29, v5
	v_pk_add_f32 v[2:3], v[2:3], v[52:53]
	;; [unrolled: 2-line block ×6, first 2 shown]
	v_pk_add_f32 v[40:41], v[34:35], v[12:13] neg_lo:[0,1] neg_hi:[0,1]
	v_pk_add_f32 v[2:3], v[2:3], v[46:47]
	v_pk_add_f32 v[38:39], v[34:35], v[12:13]
	;; [unrolled: 1-line block ×3, first 2 shown]
	v_pk_mul_f32 v[4:5], v[40:41], s[20:21] op_sel_hi:[1,0]
	v_pk_add_f32 v[2:3], v[2:3], v[42:43]
	v_pk_add_f32 v[54:55], v[52:53], v[16:17]
	;; [unrolled: 1-line block ×3, first 2 shown]
	v_pk_add_f32 v[52:53], v[52:53], v[16:17] neg_lo:[0,1] neg_hi:[0,1]
	v_pk_add_f32 v[2:3], v[2:3], v[16:17]
	v_pk_mul_f32 v[8:9], v[52:53], s[6:7] op_sel_hi:[1,0]
	v_pk_add_f32 v[30:31], v[2:3], v[12:13]
	v_pk_fma_f32 v[2:3], v[38:39], s[34:35], v[4:5] op_sel:[0,0,1] op_sel_hi:[1,0,0]
	v_pk_fma_f32 v[4:5], v[38:39], s[34:35], v[4:5] op_sel:[0,0,1] op_sel_hi:[1,0,0] neg_lo:[0,0,1] neg_hi:[0,0,1]
	v_mov_b32_e32 v6, v2
	v_mov_b32_e32 v7, v5
	v_pk_add_f32 v[10:11], v[0:1], v[6:7]
	v_pk_fma_f32 v[6:7], v[54:55], s[30:31], v[8:9] op_sel:[0,0,1] op_sel_hi:[1,0,0]
	v_pk_fma_f32 v[8:9], v[54:55], s[30:31], v[8:9] op_sel:[0,0,1] op_sel_hi:[1,0,0] neg_lo:[0,0,1] neg_hi:[0,0,1]
	v_mov_b32_e32 v12, v6
	v_mov_b32_e32 v13, v9
	v_pk_add_f32 v[86:87], v[26:27], v[20:21] neg_lo:[0,1] neg_hi:[0,1]
	v_pk_add_f32 v[14:15], v[12:13], v[10:11]
	v_pk_add_f32 v[84:85], v[26:27], v[20:21]
	v_pk_mul_f32 v[12:13], v[86:87], s[14:15] op_sel_hi:[1,0]
	v_pk_add_f32 v[88:89], v[28:29], v[42:43]
	v_pk_fma_f32 v[10:11], v[84:85], s[10:11], v[12:13] op_sel:[0,0,1] op_sel_hi:[1,0,0]
	v_pk_fma_f32 v[12:13], v[84:85], s[10:11], v[12:13] op_sel:[0,0,1] op_sel_hi:[1,0,0] neg_lo:[0,0,1] neg_hi:[0,0,1]
	v_mov_b32_e32 v16, v10
	v_mov_b32_e32 v17, v13
	v_pk_add_f32 v[42:43], v[28:29], v[42:43] neg_lo:[0,1] neg_hi:[0,1]
	v_pk_add_f32 v[18:19], v[16:17], v[14:15]
	v_pk_mul_f32 v[16:17], v[42:43], s[2:3] op_sel_hi:[1,0]
	v_pk_add_f32 v[90:91], v[50:51], v[44:45]
	v_pk_fma_f32 v[14:15], v[88:89], s[36:37], v[16:17] op_sel:[0,0,1] op_sel_hi:[1,0,0]
	v_pk_fma_f32 v[16:17], v[88:89], s[36:37], v[16:17] op_sel:[0,0,1] op_sel_hi:[1,0,0] neg_lo:[0,0,1] neg_hi:[0,0,1]
	v_mov_b32_e32 v20, v14
	v_mov_b32_e32 v21, v17
	v_pk_add_f32 v[44:45], v[50:51], v[44:45] neg_lo:[0,1] neg_hi:[0,1]
	;; [unrolled: 8-line block ×3, first 2 shown]
	v_pk_add_f32 v[26:27], v[24:25], v[22:23]
	v_pk_mul_f32 v[24:25], v[46:47], s[12:13] op_sel_hi:[1,0]
	v_pk_mul_f32 v[110:111], v[52:53], s[12:13] op_sel_hi:[1,0]
	v_pk_fma_f32 v[22:23], v[50:51], s[40:41], v[24:25] op_sel:[0,0,1] op_sel_hi:[1,0,0]
	v_pk_fma_f32 v[24:25], v[50:51], s[40:41], v[24:25] op_sel:[0,0,1] op_sel_hi:[1,0,0] neg_lo:[0,0,1] neg_hi:[0,0,1]
	v_mov_b32_e32 v28, v22
	v_mov_b32_e32 v29, v25
	v_pk_add_f32 v[26:27], v[28:29], v[26:27]
	ds_write2_b64 v56, v[30:31], v[26:27] offset1:169
	v_pk_mul_f32 v[26:27], v[40:41], s[6:7] op_sel_hi:[1,0]
	v_pk_fma_f32 v[112:113], v[54:55], s[40:41], v[110:111] op_sel:[0,0,1] op_sel_hi:[1,0,0]
	v_pk_fma_f32 v[28:29], v[38:39], s[30:31], v[26:27] op_sel:[0,0,1] op_sel_hi:[1,0,0]
	v_pk_fma_f32 v[26:27], v[38:39], s[30:31], v[26:27] op_sel:[0,0,1] op_sel_hi:[1,0,0] neg_lo:[0,0,1] neg_hi:[0,0,1]
	v_mov_b32_e32 v30, v28
	v_mov_b32_e32 v31, v27
	v_pk_add_f32 v[34:35], v[0:1], v[30:31]
	v_pk_mul_f32 v[30:31], v[52:53], s[2:3] op_sel_hi:[1,0]
	v_pk_fma_f32 v[110:111], v[54:55], s[40:41], v[110:111] op_sel:[0,0,1] op_sel_hi:[1,0,0] neg_lo:[0,0,1] neg_hi:[0,0,1]
	v_pk_fma_f32 v[32:33], v[54:55], s[36:37], v[30:31] op_sel:[0,0,1] op_sel_hi:[1,0,0]
	v_pk_fma_f32 v[30:31], v[54:55], s[36:37], v[30:31] op_sel:[0,0,1] op_sel_hi:[1,0,0] neg_lo:[0,0,1] neg_hi:[0,0,1]
	v_mov_b32_e32 v36, v32
	v_mov_b32_e32 v37, v31
	v_pk_add_f32 v[48:49], v[36:37], v[34:35]
	v_pk_mul_f32 v[36:37], v[86:87], s[12:13] op_sel_hi:[1,0]
	v_mov_b32_e32 v114, v112
	v_pk_fma_f32 v[34:35], v[84:85], s[40:41], v[36:37] op_sel:[0,0,1] op_sel_hi:[1,0,0]
	v_pk_fma_f32 v[36:37], v[84:85], s[40:41], v[36:37] op_sel:[0,0,1] op_sel_hi:[1,0,0] neg_lo:[0,0,1] neg_hi:[0,0,1]
	v_mov_b32_e32 v92, v34
	v_mov_b32_e32 v93, v37
	v_pk_add_f32 v[48:49], v[92:93], v[48:49]
	v_pk_mul_f32 v[92:93], v[42:43], s[22:23] op_sel_hi:[1,0]
	v_mov_b32_e32 v115, v111
	v_pk_fma_f32 v[94:95], v[88:89], s[38:39], v[92:93] op_sel:[0,0,1] op_sel_hi:[1,0,0]
	v_pk_fma_f32 v[92:93], v[88:89], s[38:39], v[92:93] op_sel:[0,0,1] op_sel_hi:[1,0,0] neg_lo:[0,0,1] neg_hi:[0,0,1]
	v_mov_b32_e32 v96, v94
	v_mov_b32_e32 v97, v93
	v_pk_add_f32 v[48:49], v[96:97], v[48:49]
	v_pk_mul_f32 v[96:97], v[44:45], s[16:17] op_sel_hi:[1,0]
	v_pk_mul_f32 v[132:133], v[52:53], s[22:23] op_sel_hi:[1,0]
	v_pk_fma_f32 v[98:99], v[90:91], s[10:11], v[96:97] op_sel:[0,0,1] op_sel_hi:[1,0,0]
	v_pk_fma_f32 v[96:97], v[90:91], s[10:11], v[96:97] op_sel:[0,0,1] op_sel_hi:[1,0,0] neg_lo:[0,0,1] neg_hi:[0,0,1]
	v_mov_b32_e32 v100, v98
	v_mov_b32_e32 v101, v97
	v_pk_add_f32 v[48:49], v[100:101], v[48:49]
	v_pk_mul_f32 v[100:101], v[46:47], s[18:19] op_sel_hi:[1,0]
	v_pk_fma_f32 v[134:135], v[54:55], s[38:39], v[132:133] op_sel:[0,0,1] op_sel_hi:[1,0,0]
	v_pk_fma_f32 v[102:103], v[50:51], s[34:35], v[100:101] op_sel:[0,0,1] op_sel_hi:[1,0,0]
	v_pk_fma_f32 v[100:101], v[50:51], s[34:35], v[100:101] op_sel:[0,0,1] op_sel_hi:[1,0,0] neg_lo:[0,0,1] neg_hi:[0,0,1]
	v_mov_b32_e32 v104, v102
	v_mov_b32_e32 v105, v101
	v_pk_add_f32 v[48:49], v[104:105], v[48:49]
	v_pk_mul_f32 v[104:105], v[40:41], s[14:15] op_sel_hi:[1,0]
	v_pk_fma_f32 v[132:133], v[54:55], s[38:39], v[132:133] op_sel:[0,0,1] op_sel_hi:[1,0,0] neg_lo:[0,0,1] neg_hi:[0,0,1]
	v_pk_fma_f32 v[106:107], v[38:39], s[10:11], v[104:105] op_sel:[0,0,1] op_sel_hi:[1,0,0]
	v_pk_fma_f32 v[104:105], v[38:39], s[10:11], v[104:105] op_sel:[0,0,1] op_sel_hi:[1,0,0] neg_lo:[0,0,1] neg_hi:[0,0,1]
	v_mov_b32_e32 v108, v106
	v_mov_b32_e32 v109, v105
	v_pk_add_f32 v[108:109], v[0:1], v[108:109]
	v_mov_b32_e32 v136, v134
	v_pk_add_f32 v[108:109], v[114:115], v[108:109]
	v_pk_mul_f32 v[114:115], v[86:87], s[26:27] op_sel_hi:[1,0]
	v_mov_b32_e32 v137, v133
	v_pk_fma_f32 v[116:117], v[84:85], s[36:37], v[114:115] op_sel:[0,0,1] op_sel_hi:[1,0,0]
	v_pk_fma_f32 v[114:115], v[84:85], s[36:37], v[114:115] op_sel:[0,0,1] op_sel_hi:[1,0,0] neg_lo:[0,0,1] neg_hi:[0,0,1]
	v_mov_b32_e32 v118, v116
	v_mov_b32_e32 v119, v115
	v_pk_add_f32 v[108:109], v[118:119], v[108:109]
	v_pk_mul_f32 v[118:119], v[42:43], s[18:19] op_sel_hi:[1,0]
	v_pk_mul_f32 v[158:159], v[52:53], s[16:17] op_sel_hi:[1,0]
	v_pk_fma_f32 v[120:121], v[88:89], s[34:35], v[118:119] op_sel:[0,0,1] op_sel_hi:[1,0,0]
	v_pk_fma_f32 v[118:119], v[88:89], s[34:35], v[118:119] op_sel:[0,0,1] op_sel_hi:[1,0,0] neg_lo:[0,0,1] neg_hi:[0,0,1]
	v_mov_b32_e32 v122, v120
	v_mov_b32_e32 v123, v119
	v_pk_add_f32 v[108:109], v[122:123], v[108:109]
	v_pk_mul_f32 v[122:123], v[44:45], s[6:7] op_sel_hi:[1,0]
	v_pk_fma_f32 v[160:161], v[54:55], s[10:11], v[158:159] op_sel:[0,0,1] op_sel_hi:[1,0,0]
	v_pk_fma_f32 v[124:125], v[90:91], s[30:31], v[122:123] op_sel:[0,0,1] op_sel_hi:[1,0,0]
	v_pk_fma_f32 v[122:123], v[90:91], s[30:31], v[122:123] op_sel:[0,0,1] op_sel_hi:[1,0,0] neg_lo:[0,0,1] neg_hi:[0,0,1]
	v_mov_b32_e32 v126, v124
	v_mov_b32_e32 v127, v123
	v_pk_add_f32 v[108:109], v[126:127], v[108:109]
	v_pk_mul_f32 v[126:127], v[46:47], s[8:9] op_sel_hi:[1,0]
	v_pk_fma_f32 v[158:159], v[54:55], s[10:11], v[158:159] op_sel:[0,0,1] op_sel_hi:[1,0,0] neg_lo:[0,0,1] neg_hi:[0,0,1]
	v_pk_fma_f32 v[128:129], v[50:51], s[38:39], v[126:127] op_sel:[0,0,1] op_sel_hi:[1,0,0]
	v_pk_fma_f32 v[126:127], v[50:51], s[38:39], v[126:127] op_sel:[0,0,1] op_sel_hi:[1,0,0] neg_lo:[0,0,1] neg_hi:[0,0,1]
	v_mov_b32_e32 v130, v128
	v_mov_b32_e32 v131, v127
	v_pk_add_f32 v[108:109], v[130:131], v[108:109]
	ds_write2_b64 v62, v[48:49], v[108:109] offset0:82 offset1:251
	v_pk_mul_f32 v[48:49], v[40:41], s[2:3] op_sel_hi:[1,0]
	v_mov_b32_e32 v162, v160
	v_pk_fma_f32 v[108:109], v[38:39], s[36:37], v[48:49] op_sel:[0,0,1] op_sel_hi:[1,0,0]
	v_pk_fma_f32 v[48:49], v[38:39], s[36:37], v[48:49] op_sel:[0,0,1] op_sel_hi:[1,0,0] neg_lo:[0,0,1] neg_hi:[0,0,1]
	v_mov_b32_e32 v130, v108
	v_mov_b32_e32 v131, v49
	v_pk_add_f32 v[130:131], v[0:1], v[130:131]
	v_mov_b32_e32 v163, v159
	v_pk_add_f32 v[130:131], v[136:137], v[130:131]
	v_pk_mul_f32 v[136:137], v[86:87], s[18:19] op_sel_hi:[1,0]
	v_mov_b32_e32 v49, v109
	v_pk_fma_f32 v[138:139], v[84:85], s[34:35], v[136:137] op_sel:[0,0,1] op_sel_hi:[1,0,0]
	v_pk_fma_f32 v[136:137], v[84:85], s[34:35], v[136:137] op_sel:[0,0,1] op_sel_hi:[1,0,0] neg_lo:[0,0,1] neg_hi:[0,0,1]
	v_mov_b32_e32 v140, v138
	v_mov_b32_e32 v141, v137
	v_pk_add_f32 v[130:131], v[140:141], v[130:131]
	v_pk_mul_f32 v[140:141], v[42:43], s[14:15] op_sel_hi:[1,0]
	v_mov_b32_e32 v159, v161
	v_pk_fma_f32 v[142:143], v[88:89], s[10:11], v[140:141] op_sel:[0,0,1] op_sel_hi:[1,0,0]
	v_pk_fma_f32 v[140:141], v[88:89], s[10:11], v[140:141] op_sel:[0,0,1] op_sel_hi:[1,0,0] neg_lo:[0,0,1] neg_hi:[0,0,1]
	v_mov_b32_e32 v144, v142
	;; [unrolled: 7-line block ×4, first 2 shown]
	v_mov_b32_e32 v153, v149
	v_pk_add_f32 v[130:131], v[152:153], v[130:131]
	v_pk_mul_f32 v[152:153], v[40:41], s[8:9] op_sel_hi:[1,0]
	v_pk_mul_f32 v[40:41], v[40:41], s[12:13] op_sel_hi:[1,0]
	v_pk_fma_f32 v[154:155], v[38:39], s[38:39], v[152:153] op_sel:[0,0,1] op_sel_hi:[1,0,0]
	v_pk_fma_f32 v[152:153], v[38:39], s[38:39], v[152:153] op_sel:[0,0,1] op_sel_hi:[1,0,0] neg_lo:[0,0,1] neg_hi:[0,0,1]
	v_mov_b32_e32 v156, v154
	v_mov_b32_e32 v157, v153
	v_pk_add_f32 v[156:157], v[0:1], v[156:157]
	v_mov_b32_e32 v153, v155
	v_pk_add_f32 v[156:157], v[162:163], v[156:157]
	v_pk_mul_f32 v[162:163], v[86:87], s[6:7] op_sel_hi:[1,0]
	v_pk_mul_f32 v[86:87], v[86:87], s[8:9] op_sel_hi:[1,0]
	v_pk_fma_f32 v[164:165], v[84:85], s[30:31], v[162:163] op_sel:[0,0,1] op_sel_hi:[1,0,0]
	v_pk_fma_f32 v[162:163], v[84:85], s[30:31], v[162:163] op_sel:[0,0,1] op_sel_hi:[1,0,0] neg_lo:[0,0,1] neg_hi:[0,0,1]
	v_mov_b32_e32 v166, v164
	v_mov_b32_e32 v167, v163
	v_pk_add_f32 v[156:157], v[166:167], v[156:157]
	v_pk_mul_f32 v[166:167], v[42:43], s[28:29] op_sel_hi:[1,0]
	v_pk_mul_f32 v[42:43], v[42:43], s[24:25] op_sel_hi:[1,0]
	v_pk_fma_f32 v[168:169], v[88:89], s[40:41], v[166:167] op_sel:[0,0,1] op_sel_hi:[1,0,0]
	v_pk_fma_f32 v[166:167], v[88:89], s[40:41], v[166:167] op_sel:[0,0,1] op_sel_hi:[1,0,0] neg_lo:[0,0,1] neg_hi:[0,0,1]
	v_mov_b32_e32 v170, v168
	;; [unrolled: 7-line block ×4, first 2 shown]
	v_mov_b32_e32 v179, v175
	v_pk_add_f32 v[156:157], v[178:179], v[156:157]
	ds_write2_b64 v247, v[130:131], v[156:157] offset0:36 offset1:205
	v_pk_fma_f32 v[130:131], v[38:39], s[40:41], v[40:41] op_sel:[0,0,1] op_sel_hi:[1,0,0]
	v_pk_fma_f32 v[38:39], v[38:39], s[40:41], v[40:41] op_sel:[0,0,1] op_sel_hi:[1,0,0] neg_lo:[0,0,1] neg_hi:[0,0,1]
	v_pk_mul_f32 v[40:41], v[52:53], s[18:19] op_sel_hi:[1,0]
	v_mov_b32_e32 v163, v165
	v_pk_fma_f32 v[52:53], v[54:55], s[34:35], v[40:41] op_sel:[0,0,1] op_sel_hi:[1,0,0]
	v_pk_fma_f32 v[40:41], v[54:55], s[34:35], v[40:41] op_sel:[0,0,1] op_sel_hi:[1,0,0] neg_lo:[0,0,1] neg_hi:[0,0,1]
	v_mov_b32_e32 v54, v130
	v_mov_b32_e32 v55, v39
	v_pk_add_f32 v[54:55], v[0:1], v[54:55]
	v_mov_b32_e32 v156, v52
	v_mov_b32_e32 v157, v41
	v_pk_add_f32 v[54:55], v[156:157], v[54:55]
	v_pk_fma_f32 v[156:157], v[84:85], s[38:39], v[86:87] op_sel:[0,0,1] op_sel_hi:[1,0,0]
	v_pk_fma_f32 v[84:85], v[84:85], s[38:39], v[86:87] op_sel:[0,0,1] op_sel_hi:[1,0,0] neg_lo:[0,0,1] neg_hi:[0,0,1]
	v_mov_b32_e32 v86, v156
	v_mov_b32_e32 v87, v85
	v_pk_add_f32 v[54:55], v[86:87], v[54:55]
	v_pk_fma_f32 v[86:87], v[88:89], s[30:31], v[42:43] op_sel:[0,0,1] op_sel_hi:[1,0,0]
	v_pk_fma_f32 v[42:43], v[88:89], s[30:31], v[42:43] op_sel:[0,0,1] op_sel_hi:[1,0,0] neg_lo:[0,0,1] neg_hi:[0,0,1]
	v_mov_b32_e32 v39, v131
	v_mov_b32_e32 v88, v86
	;; [unrolled: 1-line block ×4, first 2 shown]
	v_pk_add_f32 v[38:39], v[0:1], v[38:39]
	v_pk_add_f32 v[54:55], v[88:89], v[54:55]
	v_pk_fma_f32 v[88:89], v[90:91], s[36:37], v[44:45] op_sel:[0,0,1] op_sel_hi:[1,0,0]
	v_pk_fma_f32 v[44:45], v[90:91], s[36:37], v[44:45] op_sel:[0,0,1] op_sel_hi:[1,0,0] neg_lo:[0,0,1] neg_hi:[0,0,1]
	v_pk_add_f32 v[38:39], v[40:41], v[38:39]
	v_mov_b32_e32 v85, v157
	v_mov_b32_e32 v90, v88
	;; [unrolled: 1-line block ×3, first 2 shown]
	v_pk_add_f32 v[38:39], v[84:85], v[38:39]
	v_mov_b32_e32 v43, v87
	v_pk_add_f32 v[54:55], v[90:91], v[54:55]
	v_pk_fma_f32 v[90:91], v[50:51], s[10:11], v[46:47] op_sel:[0,0,1] op_sel_hi:[1,0,0]
	v_pk_fma_f32 v[46:47], v[50:51], s[10:11], v[46:47] op_sel:[0,0,1] op_sel_hi:[1,0,0] neg_lo:[0,0,1] neg_hi:[0,0,1]
	v_pk_add_f32 v[38:39], v[42:43], v[38:39]
	v_mov_b32_e32 v45, v89
	v_mov_b32_e32 v50, v90
	;; [unrolled: 1-line block ×3, first 2 shown]
	v_pk_add_f32 v[38:39], v[44:45], v[38:39]
	v_mov_b32_e32 v47, v91
	v_pk_add_f32 v[50:51], v[50:51], v[54:55]
	v_pk_add_f32 v[38:39], v[46:47], v[38:39]
	ds_write2_b64 v246, v[50:51], v[38:39] offset0:54 offset1:223
	v_pk_add_f32 v[38:39], v[0:1], v[152:153]
	v_pk_add_f32 v[40:41], v[0:1], v[48:49]
	;; [unrolled: 1-line block ×5, first 2 shown]
	v_mov_b32_e32 v167, v169
	v_pk_add_f32 v[40:41], v[136:137], v[40:41]
	v_mov_b32_e32 v141, v143
	v_pk_add_f32 v[38:39], v[166:167], v[38:39]
	;; [unrolled: 2-line block ×6, first 2 shown]
	v_pk_add_f32 v[40:41], v[148:149], v[40:41]
	v_mov_b32_e32 v105, v107
	v_mov_b32_e32 v27, v29
	;; [unrolled: 1-line block ×3, first 2 shown]
	ds_write2_b64 v245, v[38:39], v[40:41] offset0:72 offset1:241
	v_mov_b32_e32 v111, v113
	v_pk_add_f32 v[38:39], v[0:1], v[104:105]
	v_mov_b32_e32 v31, v33
	v_pk_add_f32 v[26:27], v[0:1], v[26:27]
	v_pk_add_f32 v[0:1], v[0:1], v[4:5]
	v_mov_b32_e32 v9, v7
	v_pk_add_f32 v[38:39], v[110:111], v[38:39]
	v_mov_b32_e32 v115, v117
	;; [unrolled: 2-line block ×13, first 2 shown]
	v_pk_add_f32 v[38:39], v[126:127], v[38:39]
	v_pk_add_f32 v[26:27], v[100:101], v[26:27]
	;; [unrolled: 1-line block ×3, first 2 shown]
	ds_write2_b64 v244, v[38:39], v[26:27] offset0:26 offset1:195
	ds_write_b64 v56, v[0:1] offset:16224
	s_waitcnt lgkmcnt(0)
	s_barrier
	ds_read2_b64 v[0:3], v56 offset1:169
	v_mov_b32_e32 v4, s0
	v_mov_b32_e32 v5, s1
	s_mov_b32 s0, 0xaab49c24
	s_mov_b32 s1, 0x3f3dd46b
	s_waitcnt lgkmcnt(0)
	v_mul_f32_e32 v6, v83, v1
	v_fmac_f32_e32 v6, v82, v0
	v_mul_f32_e32 v0, v83, v0
	v_fma_f32 v0, v82, v1, -v0
	v_cvt_f64_f32_e32 v[6:7], v6
	v_cvt_f64_f32_e32 v[0:1], v0
	v_mul_f64 v[6:7], v[6:7], s[0:1]
	v_mul_f64 v[0:1], v[0:1], s[0:1]
	v_accvgpr_read_b32 v9, a1
	v_cvt_f32_f64_e32 v6, v[6:7]
	v_cvt_f32_f64_e32 v7, v[0:1]
	v_mad_u64_u32 v[0:1], s[2:3], s4, v9, 0
	v_mov_b32_e32 v8, v1
	v_accvgpr_read_b32 v10, a0
	v_accvgpr_read_b32 v11, a2
	v_mad_u64_u32 v[8:9], s[2:3], s5, v9, v[8:9]
	v_mov_b32_e32 v1, v8
	v_lshl_add_u64 v[4:5], v[10:11], 3, v[4:5]
	v_lshl_add_u64 v[4:5], v[0:1], 3, v[4:5]
	v_mul_f32_e32 v0, v81, v3
	v_fmac_f32_e32 v0, v80, v2
	v_cvt_f64_f32_e32 v[0:1], v0
	v_mul_f64 v[0:1], v[0:1], s[0:1]
	global_store_dwordx2 v[4:5], v[6:7], off
	v_cvt_f32_f64_e32 v6, v[0:1]
	v_mul_f32_e32 v0, v81, v2
	v_fma_f32 v0, v80, v3, -v0
	v_cvt_f64_f32_e32 v[0:1], v0
	v_mul_f64 v[0:1], v[0:1], s[0:1]
	v_cvt_f32_f64_e32 v7, v[0:1]
	ds_read2_b64 v[0:3], v62 offset0:82 offset1:251
	v_mad_u64_u32 v[4:5], s[2:3], s4, v57, v[4:5]
	s_mul_i32 s2, s5, 0x548
	s_nop 0
	v_add_u32_e32 v5, s2, v5
	global_store_dwordx2 v[4:5], v[6:7], off
	s_waitcnt lgkmcnt(0)
	v_mul_f32_e32 v6, v75, v1
	v_fmac_f32_e32 v6, v74, v0
	v_mul_f32_e32 v0, v75, v0
	v_fma_f32 v0, v74, v1, -v0
	v_cvt_f64_f32_e32 v[6:7], v6
	v_cvt_f64_f32_e32 v[0:1], v0
	v_mul_f64 v[6:7], v[6:7], s[0:1]
	v_mul_f64 v[0:1], v[0:1], s[0:1]
	v_cvt_f32_f64_e32 v6, v[6:7]
	v_cvt_f32_f64_e32 v7, v[0:1]
	v_mul_f32_e32 v0, v71, v3
	v_fmac_f32_e32 v0, v70, v2
	v_mad_u64_u32 v[4:5], s[6:7], s4, v57, v[4:5]
	v_cvt_f64_f32_e32 v[0:1], v0
	v_add_u32_e32 v5, s2, v5
	v_mul_f64 v[0:1], v[0:1], s[0:1]
	global_store_dwordx2 v[4:5], v[6:7], off
	v_cvt_f32_f64_e32 v6, v[0:1]
	v_mul_f32_e32 v0, v71, v2
	v_fma_f32 v0, v70, v3, -v0
	v_cvt_f64_f32_e32 v[0:1], v0
	v_mul_f64 v[0:1], v[0:1], s[0:1]
	v_cvt_f32_f64_e32 v7, v[0:1]
	ds_read2_b64 v[0:3], v247 offset0:36 offset1:205
	v_mad_u64_u32 v[4:5], s[6:7], s4, v57, v[4:5]
	v_add_u32_e32 v5, s2, v5
	global_store_dwordx2 v[4:5], v[6:7], off
	s_waitcnt lgkmcnt(0)
	v_mul_f32_e32 v6, v79, v1
	v_fmac_f32_e32 v6, v78, v0
	v_mul_f32_e32 v0, v79, v0
	v_fma_f32 v0, v78, v1, -v0
	v_cvt_f64_f32_e32 v[6:7], v6
	v_cvt_f64_f32_e32 v[0:1], v0
	v_mul_f64 v[6:7], v[6:7], s[0:1]
	v_mul_f64 v[0:1], v[0:1], s[0:1]
	v_cvt_f32_f64_e32 v6, v[6:7]
	v_cvt_f32_f64_e32 v7, v[0:1]
	v_mul_f32_e32 v0, v69, v3
	v_fmac_f32_e32 v0, v68, v2
	v_mad_u64_u32 v[4:5], s[6:7], s4, v57, v[4:5]
	v_cvt_f64_f32_e32 v[0:1], v0
	v_add_u32_e32 v5, s2, v5
	v_mul_f64 v[0:1], v[0:1], s[0:1]
	global_store_dwordx2 v[4:5], v[6:7], off
	v_cvt_f32_f64_e32 v6, v[0:1]
	v_mul_f32_e32 v0, v69, v2
	v_fma_f32 v0, v68, v3, -v0
	v_cvt_f64_f32_e32 v[0:1], v0
	v_mul_f64 v[0:1], v[0:1], s[0:1]
	v_cvt_f32_f64_e32 v7, v[0:1]
	ds_read2_b64 v[0:3], v246 offset0:54 offset1:223
	v_mad_u64_u32 v[4:5], s[6:7], s4, v57, v[4:5]
	;; [unrolled: 28-line block ×4, first 2 shown]
	v_add_u32_e32 v5, s2, v5
	global_store_dwordx2 v[4:5], v[6:7], off
	s_waitcnt lgkmcnt(0)
	v_mul_f32_e32 v6, v59, v1
	v_fmac_f32_e32 v6, v58, v0
	v_mul_f32_e32 v0, v59, v0
	v_fma_f32 v0, v58, v1, -v0
	v_cvt_f64_f32_e32 v[6:7], v6
	v_cvt_f64_f32_e32 v[0:1], v0
	v_mul_f64 v[6:7], v[6:7], s[0:1]
	v_mul_f64 v[0:1], v[0:1], s[0:1]
	v_cvt_f32_f64_e32 v6, v[6:7]
	v_cvt_f32_f64_e32 v7, v[0:1]
	v_mad_u64_u32 v[0:1], s[6:7], s4, v57, v[4:5]
	v_mul_f32_e32 v4, v77, v3
	v_fmac_f32_e32 v4, v76, v2
	v_mul_f32_e32 v2, v77, v2
	v_fma_f32 v2, v76, v3, -v2
	v_cvt_f64_f32_e32 v[4:5], v4
	v_cvt_f64_f32_e32 v[2:3], v2
	v_mul_f64 v[4:5], v[4:5], s[0:1]
	v_mul_f64 v[2:3], v[2:3], s[0:1]
	v_cvt_f32_f64_e32 v4, v[4:5]
	v_cvt_f32_f64_e32 v5, v[2:3]
	ds_read_b64 v[2:3], v56 offset:16224
	v_add_u32_e32 v1, s2, v1
	global_store_dwordx2 v[0:1], v[6:7], off
	v_mad_u64_u32 v[0:1], s[6:7], s4, v57, v[0:1]
	v_add_u32_e32 v1, s2, v1
	v_accvgpr_read_b32 v7, a5
	global_store_dwordx2 v[0:1], v[4:5], off
	v_accvgpr_read_b32 v6, a4
	s_waitcnt lgkmcnt(0)
	v_mul_f32_e32 v4, v7, v3
	v_fmac_f32_e32 v4, v6, v2
	v_mul_f32_e32 v2, v7, v2
	v_fma_f32 v2, v6, v3, -v2
	v_cvt_f64_f32_e32 v[4:5], v4
	v_cvt_f64_f32_e32 v[2:3], v2
	v_mul_f64 v[4:5], v[4:5], s[0:1]
	v_mul_f64 v[2:3], v[2:3], s[0:1]
	v_mad_u64_u32 v[0:1], s[0:1], s4, v57, v[0:1]
	v_cvt_f32_f64_e32 v4, v[4:5]
	v_cvt_f32_f64_e32 v5, v[2:3]
	v_add_u32_e32 v1, s2, v1
	global_store_dwordx2 v[0:1], v[4:5], off
.LBB0_2:
	s_endpgm
	.section	.rodata,"a",@progbits
	.p2align	6, 0x0
	.amdhsa_kernel bluestein_single_fwd_len2197_dim1_sp_op_CI_CI
		.amdhsa_group_segment_fixed_size 17576
		.amdhsa_private_segment_fixed_size 0
		.amdhsa_kernarg_size 104
		.amdhsa_user_sgpr_count 2
		.amdhsa_user_sgpr_dispatch_ptr 0
		.amdhsa_user_sgpr_queue_ptr 0
		.amdhsa_user_sgpr_kernarg_segment_ptr 1
		.amdhsa_user_sgpr_dispatch_id 0
		.amdhsa_user_sgpr_kernarg_preload_length 0
		.amdhsa_user_sgpr_kernarg_preload_offset 0
		.amdhsa_user_sgpr_private_segment_size 0
		.amdhsa_uses_dynamic_stack 0
		.amdhsa_enable_private_segment 0
		.amdhsa_system_sgpr_workgroup_id_x 1
		.amdhsa_system_sgpr_workgroup_id_y 0
		.amdhsa_system_sgpr_workgroup_id_z 0
		.amdhsa_system_sgpr_workgroup_info 0
		.amdhsa_system_vgpr_workitem_id 0
		.amdhsa_next_free_vgpr 262
		.amdhsa_next_free_sgpr 56
		.amdhsa_accum_offset 256
		.amdhsa_reserve_vcc 1
		.amdhsa_float_round_mode_32 0
		.amdhsa_float_round_mode_16_64 0
		.amdhsa_float_denorm_mode_32 3
		.amdhsa_float_denorm_mode_16_64 3
		.amdhsa_dx10_clamp 1
		.amdhsa_ieee_mode 1
		.amdhsa_fp16_overflow 0
		.amdhsa_tg_split 0
		.amdhsa_exception_fp_ieee_invalid_op 0
		.amdhsa_exception_fp_denorm_src 0
		.amdhsa_exception_fp_ieee_div_zero 0
		.amdhsa_exception_fp_ieee_overflow 0
		.amdhsa_exception_fp_ieee_underflow 0
		.amdhsa_exception_fp_ieee_inexact 0
		.amdhsa_exception_int_div_zero 0
	.end_amdhsa_kernel
	.text
.Lfunc_end0:
	.size	bluestein_single_fwd_len2197_dim1_sp_op_CI_CI, .Lfunc_end0-bluestein_single_fwd_len2197_dim1_sp_op_CI_CI
                                        ; -- End function
	.section	.AMDGPU.csdata,"",@progbits
; Kernel info:
; codeLenInByte = 19128
; NumSgprs: 62
; NumVgprs: 256
; NumAgprs: 6
; TotalNumVgprs: 262
; ScratchSize: 0
; MemoryBound: 0
; FloatMode: 240
; IeeeMode: 1
; LDSByteSize: 17576 bytes/workgroup (compile time only)
; SGPRBlocks: 7
; VGPRBlocks: 32
; NumSGPRsForWavesPerEU: 62
; NumVGPRsForWavesPerEU: 262
; AccumOffset: 256
; Occupancy: 1
; WaveLimiterHint : 1
; COMPUTE_PGM_RSRC2:SCRATCH_EN: 0
; COMPUTE_PGM_RSRC2:USER_SGPR: 2
; COMPUTE_PGM_RSRC2:TRAP_HANDLER: 0
; COMPUTE_PGM_RSRC2:TGID_X_EN: 1
; COMPUTE_PGM_RSRC2:TGID_Y_EN: 0
; COMPUTE_PGM_RSRC2:TGID_Z_EN: 0
; COMPUTE_PGM_RSRC2:TIDIG_COMP_CNT: 0
; COMPUTE_PGM_RSRC3_GFX90A:ACCUM_OFFSET: 63
; COMPUTE_PGM_RSRC3_GFX90A:TG_SPLIT: 0
	.text
	.p2alignl 6, 3212836864
	.fill 256, 4, 3212836864
	.type	__hip_cuid_6add237c8c1fe730,@object ; @__hip_cuid_6add237c8c1fe730
	.section	.bss,"aw",@nobits
	.globl	__hip_cuid_6add237c8c1fe730
__hip_cuid_6add237c8c1fe730:
	.byte	0                               ; 0x0
	.size	__hip_cuid_6add237c8c1fe730, 1

	.ident	"AMD clang version 19.0.0git (https://github.com/RadeonOpenCompute/llvm-project roc-6.4.0 25133 c7fe45cf4b819c5991fe208aaa96edf142730f1d)"
	.section	".note.GNU-stack","",@progbits
	.addrsig
	.addrsig_sym __hip_cuid_6add237c8c1fe730
	.amdgpu_metadata
---
amdhsa.kernels:
  - .agpr_count:     6
    .args:
      - .actual_access:  read_only
        .address_space:  global
        .offset:         0
        .size:           8
        .value_kind:     global_buffer
      - .actual_access:  read_only
        .address_space:  global
        .offset:         8
        .size:           8
        .value_kind:     global_buffer
      - .actual_access:  read_only
        .address_space:  global
        .offset:         16
        .size:           8
        .value_kind:     global_buffer
      - .actual_access:  read_only
        .address_space:  global
        .offset:         24
        .size:           8
        .value_kind:     global_buffer
      - .actual_access:  read_only
        .address_space:  global
        .offset:         32
        .size:           8
        .value_kind:     global_buffer
      - .offset:         40
        .size:           8
        .value_kind:     by_value
      - .address_space:  global
        .offset:         48
        .size:           8
        .value_kind:     global_buffer
      - .address_space:  global
        .offset:         56
        .size:           8
        .value_kind:     global_buffer
      - .address_space:  global
        .offset:         64
        .size:           8
        .value_kind:     global_buffer
      - .address_space:  global
        .offset:         72
        .size:           8
        .value_kind:     global_buffer
      - .offset:         80
        .size:           4
        .value_kind:     by_value
      - .address_space:  global
        .offset:         88
        .size:           8
        .value_kind:     global_buffer
      - .address_space:  global
        .offset:         96
        .size:           8
        .value_kind:     global_buffer
    .group_segment_fixed_size: 17576
    .kernarg_segment_align: 8
    .kernarg_segment_size: 104
    .language:       OpenCL C
    .language_version:
      - 2
      - 0
    .max_flat_workgroup_size: 169
    .name:           bluestein_single_fwd_len2197_dim1_sp_op_CI_CI
    .private_segment_fixed_size: 0
    .sgpr_count:     62
    .sgpr_spill_count: 0
    .symbol:         bluestein_single_fwd_len2197_dim1_sp_op_CI_CI.kd
    .uniform_work_group_size: 1
    .uses_dynamic_stack: false
    .vgpr_count:     262
    .vgpr_spill_count: 0
    .wavefront_size: 64
amdhsa.target:   amdgcn-amd-amdhsa--gfx950
amdhsa.version:
  - 1
  - 2
...

	.end_amdgpu_metadata
